;; amdgpu-corpus repo=ROCm/rocFFT kind=compiled arch=gfx950 opt=O3
	.text
	.amdgcn_target "amdgcn-amd-amdhsa--gfx950"
	.amdhsa_code_object_version 6
	.protected	bluestein_single_fwd_len2700_dim1_dp_op_CI_CI ; -- Begin function bluestein_single_fwd_len2700_dim1_dp_op_CI_CI
	.globl	bluestein_single_fwd_len2700_dim1_dp_op_CI_CI
	.p2align	8
	.type	bluestein_single_fwd_len2700_dim1_dp_op_CI_CI,@function
bluestein_single_fwd_len2700_dim1_dp_op_CI_CI: ; @bluestein_single_fwd_len2700_dim1_dp_op_CI_CI
; %bb.0:
	s_load_dwordx4 s[12:15], s[0:1], 0x28
	v_mul_u32_u24_e32 v1, 0x2d9, v0
	v_add_u32_sdwa v232, s2, v1 dst_sel:DWORD dst_unused:UNUSED_PAD src0_sel:DWORD src1_sel:WORD_1
	v_mov_b32_e32 v233, 0
	s_waitcnt lgkmcnt(0)
	v_cmp_gt_u64_e32 vcc, s[12:13], v[232:233]
	s_and_saveexec_b64 s[2:3], vcc
	s_cbranch_execz .LBB0_2
; %bb.1:
	s_load_dwordx4 s[4:7], s[0:1], 0x0
	s_load_dwordx4 s[8:11], s[0:1], 0x18
	s_load_dwordx2 s[2:3], s[0:1], 0x38
	s_movk_i32 s0, 0x5a
	v_mul_lo_u16_sdwa v1, v1, s0 dst_sel:DWORD dst_unused:UNUSED_PAD src0_sel:WORD_1 src1_sel:DWORD
	s_mov_b32 s0, 0
	v_mov_b32_e32 v131, s0
	s_waitcnt lgkmcnt(0)
	v_mov_b32_e32 v4, s2
	v_mov_b32_e32 v5, s3
	s_load_dwordx4 s[0:3], s[10:11], 0x0
	scratch_store_dwordx2 off, v[4:5], off offset:616 ; 8-byte Folded Spill
	v_sub_u16_e32 v130, v0, v1
	v_mov_b32_e32 v2, s14
	v_mov_b32_e32 v3, s15
	s_waitcnt lgkmcnt(0)
	v_mad_u64_u32 v[4:5], s[10:11], s2, v232, 0
	s_load_dwordx4 s[8:11], s[8:9], 0x0
	v_mov_b32_e32 v0, v5
	v_mad_u64_u32 v[0:1], s[2:3], s3, v232, v[0:1]
	v_mov_b32_e32 v5, v0
	s_waitcnt lgkmcnt(0)
	v_mad_u64_u32 v[0:1], s[2:3], s10, v232, 0
	scratch_store_dwordx2 off, v[4:5], off offset:656 ; 8-byte Folded Spill
	v_mov_b32_e32 v4, v1
	v_mad_u64_u32 v[4:5], s[2:3], s11, v232, v[4:5]
	v_mov_b32_e32 v1, v4
	v_mad_u64_u32 v[4:5], s[2:3], s8, v130, 0
	;; [unrolled: 2-line block ×3, first 2 shown]
	v_mov_b32_e32 v5, v6
	v_lshl_add_u64 v[0:1], v[0:1], 4, v[2:3]
	v_lshl_add_u64 v[8:9], v[4:5], 4, v[0:1]
	v_lshlrev_b32_e32 v232, 4, v130
	global_load_dwordx4 v[0:3], v[8:9], off
	global_load_dwordx4 v[10:13], v232, s[4:5]
	v_mov_b32_e32 v204, 0x3840
	v_lshl_add_u64 v[128:129], s[4:5], 0, v[232:233]
	s_movk_i32 s26, 0x3000
	v_mov_b32_e32 v230, 0xffff9520
                                        ; kill: killed $sgpr4_sgpr5
	s_movk_i32 s27, 0x1000
	s_movk_i32 s28, 0x2000
	v_add_u32_e32 v236, 0x168, v130
	v_add_u32_e32 v237, 0x1c2, v130
	s_movk_i32 s24, 0x90
	s_mov_b32 s17, 0xbfee6f0e
	s_mov_b32 s12, 0x372fe950
	;; [unrolled: 1-line block ×10, first 2 shown]
	s_movk_i32 s25, 0x89
	s_waitcnt vmcnt(0)
	scratch_store_dwordx4 off, v[10:13], off offset:40 ; 16-byte Folded Spill
	v_mul_f64 v[4:5], v[2:3], v[12:13]
	v_fmac_f64_e32 v[4:5], v[0:1], v[10:11]
	v_mul_f64 v[0:1], v[0:1], v[12:13]
	v_fma_f64 v[6:7], v[2:3], v[10:11], -v[0:1]
	v_mad_u64_u32 v[10:11], s[2:3], s8, v204, v[8:9]
	ds_write_b128 v232, v[4:7]
	s_mul_i32 s2, s9, 0x3840
	v_add_co_u32_e32 v4, vcc, s26, v128
	v_add_u32_e32 v11, s2, v11
	s_nop 0
	v_addc_co_u32_e32 v5, vcc, 0, v129, vcc
	global_load_dwordx4 v[0:3], v[10:11], off
	global_load_dwordx4 v[12:15], v[4:5], off offset:2112
	s_movk_i32 s3, 0x7000
	s_waitcnt vmcnt(0)
	v_mul_f64 v[6:7], v[2:3], v[14:15]
	v_fmac_f64_e32 v[6:7], v[0:1], v[12:13]
	v_mul_f64 v[0:1], v[0:1], v[14:15]
	v_fma_f64 v[8:9], v[2:3], v[12:13], -v[0:1]
	v_mad_u64_u32 v[2:3], s[10:11], s8, v204, v[10:11]
	v_add_co_u32_e32 v0, vcc, s3, v128
	v_add_u32_e32 v3, s2, v3
	s_nop 0
	v_addc_co_u32_e32 v1, vcc, 0, v129, vcc
	scratch_store_dwordx4 off, v[12:15], off offset:72 ; 16-byte Folded Spill
	ds_write_b128 v232, v[6:9] offset:14400
	global_load_dwordx4 v[6:9], v[2:3], off
	global_load_dwordx4 v[12:15], v[0:1], off offset:128
	s_mov_b64 s[10:11], 0x5a
	s_mul_i32 s3, s9, 0xffff9520
	v_lshl_add_u64 v[142:143], v[130:131], 0, s[10:11]
	s_sub_i32 s3, s3, s8
                                        ; kill: killed $vgpr0 killed $vgpr1
	s_waitcnt vmcnt(0)
	v_mul_f64 v[10:11], v[8:9], v[14:15]
	v_fmac_f64_e32 v[10:11], v[6:7], v[12:13]
	v_mul_f64 v[6:7], v[6:7], v[14:15]
	scratch_store_dwordx4 off, v[12:15], off offset:88 ; 16-byte Folded Spill
	s_nop 1
	v_fma_f64 v[12:13], v[8:9], v[12:13], -v[6:7]
	v_mov_b32_e32 v6, 0xffff9520
	v_mad_u64_u32 v[2:3], s[10:11], s8, v6, v[2:3]
	ds_write_b128 v232, v[10:13] offset:28800
	v_add_u32_e32 v3, s3, v3
	global_load_dwordx4 v[6:9], v[2:3], off
	global_load_dwordx4 v[12:15], v232, s[4:5] offset:1440
	v_mad_u64_u32 v[2:3], s[10:11], s8, v204, v[2:3]
	v_add_u32_e32 v3, s2, v3
	s_waitcnt vmcnt(0)
	v_mul_f64 v[10:11], v[8:9], v[14:15]
	v_fmac_f64_e32 v[10:11], v[6:7], v[12:13]
	v_mul_f64 v[6:7], v[6:7], v[14:15]
	scratch_store_dwordx4 off, v[12:15], off offset:104 ; 16-byte Folded Spill
	s_nop 1
	v_fma_f64 v[12:13], v[8:9], v[12:13], -v[6:7]
	ds_write_b128 v232, v[10:13] offset:1440
	global_load_dwordx4 v[6:9], v[2:3], off
	global_load_dwordx4 v[12:15], v[4:5], off offset:3552
	v_mad_u64_u32 v[2:3], s[10:11], s8, v204, v[2:3]
	v_add_u32_e32 v3, s2, v3
	s_mov_b64 s[10:11], 0xb4
	v_lshl_add_u64 v[144:145], v[130:131], 0, s[10:11]
	s_waitcnt vmcnt(0)
	v_mul_f64 v[10:11], v[8:9], v[14:15]
	v_fmac_f64_e32 v[10:11], v[6:7], v[12:13]
	v_mul_f64 v[6:7], v[6:7], v[14:15]
	scratch_store_dwordx4 off, v[12:15], off offset:120 ; 16-byte Folded Spill
	s_nop 1
	v_fma_f64 v[12:13], v[8:9], v[12:13], -v[6:7]
	ds_write_b128 v232, v[10:13] offset:15840
	global_load_dwordx4 v[6:9], v[2:3], off
	global_load_dwordx4 v[12:15], v[0:1], off offset:1568
	v_mad_u64_u32 v[2:3], s[10:11], s8, v230, v[2:3]
	v_add_u32_e32 v3, s3, v3
	s_waitcnt vmcnt(0)
	v_mul_f64 v[10:11], v[8:9], v[14:15]
	v_fmac_f64_e32 v[10:11], v[6:7], v[12:13]
	v_mul_f64 v[6:7], v[6:7], v[14:15]
	scratch_store_dwordx4 off, v[12:15], off offset:136 ; 16-byte Folded Spill
	s_nop 1
	v_fma_f64 v[12:13], v[8:9], v[12:13], -v[6:7]
	ds_write_b128 v232, v[10:13] offset:30240
	global_load_dwordx4 v[6:9], v[2:3], off
	global_load_dwordx4 v[12:15], v232, s[4:5] offset:2880
	s_waitcnt vmcnt(0)
	v_mul_f64 v[10:11], v[8:9], v[14:15]
	scratch_store_dwordx4 off, v[12:15], off offset:152 ; 16-byte Folded Spill
	v_fmac_f64_e32 v[10:11], v[6:7], v[12:13]
	v_mul_f64 v[6:7], v[6:7], v[14:15]
	v_mad_u64_u32 v[14:15], s[4:5], s8, v204, v[2:3]
	s_movk_i32 s4, 0x4000
	s_nop 0
	v_add_co_u32_e32 v2, vcc, s4, v128
	v_add_u32_e32 v15, s2, v15
	s_nop 0
	v_addc_co_u32_e32 v3, vcc, 0, v129, vcc
	v_fma_f64 v[12:13], v[8:9], v[12:13], -v[6:7]
	global_load_dwordx4 v[6:9], v[14:15], off
	global_load_dwordx4 v[16:19], v[2:3], off offset:896
	ds_write_b128 v232, v[10:13] offset:2880
	v_mad_u64_u32 v[14:15], s[4:5], s8, v204, v[14:15]
	v_add_u32_e32 v15, s2, v15
	s_mov_b64 s[4:5], 0x10e
	v_lshl_add_u64 v[234:235], v[130:131], 0, s[4:5]
                                        ; kill: killed $vgpr2 killed $vgpr3
	s_waitcnt vmcnt(0)
	v_mul_f64 v[10:11], v[8:9], v[18:19]
	v_fmac_f64_e32 v[10:11], v[6:7], v[16:17]
	v_mul_f64 v[6:7], v[6:7], v[18:19]
	v_fma_f64 v[12:13], v[8:9], v[16:17], -v[6:7]
	scratch_store_dwordx4 off, v[16:19], off offset:168 ; 16-byte Folded Spill
	ds_write_b128 v232, v[10:13] offset:17280
	global_load_dwordx4 v[6:9], v[14:15], off
	global_load_dwordx4 v[16:19], v[0:1], off offset:3008
	s_waitcnt vmcnt(0)
	v_mul_f64 v[0:1], v[6:7], v[18:19]
	v_fma_f64 v[12:13], v[8:9], v[16:17], -v[0:1]
	v_mad_u64_u32 v[0:1], s[4:5], s8, v230, v[14:15]
	v_add_co_u32_e32 v14, vcc, s27, v128
	v_mul_f64 v[10:11], v[8:9], v[18:19]
	v_add_u32_e32 v1, s3, v1
	v_addc_co_u32_e32 v15, vcc, 0, v129, vcc
	scratch_store_dwordx4 off, v[16:19], off offset:184 ; 16-byte Folded Spill
	v_fmac_f64_e32 v[10:11], v[6:7], v[16:17]
	global_load_dwordx4 v[6:9], v[0:1], off
	global_load_dwordx4 v[16:19], v[14:15], off offset:224
	ds_write_b128 v232, v[10:13] offset:31680
	v_mad_u64_u32 v[0:1], s[4:5], s8, v204, v[0:1]
	v_add_u32_e32 v1, s2, v1
                                        ; kill: killed $vgpr14 killed $vgpr15
	s_waitcnt vmcnt(0)
	v_mul_f64 v[10:11], v[8:9], v[18:19]
	v_fmac_f64_e32 v[10:11], v[6:7], v[16:17]
	v_mul_f64 v[6:7], v[6:7], v[18:19]
	v_fma_f64 v[12:13], v[8:9], v[16:17], -v[6:7]
	scratch_store_dwordx4 off, v[16:19], off offset:200 ; 16-byte Folded Spill
	ds_write_b128 v232, v[10:13] offset:4320
	global_load_dwordx4 v[6:9], v[0:1], off
	global_load_dwordx4 v[16:19], v[2:3], off offset:2336
	v_mad_u64_u32 v[0:1], s[4:5], s8, v204, v[0:1]
	s_mov_b32 s4, 0x8000
	v_add_u32_e32 v1, s2, v1
	s_waitcnt vmcnt(0)
	v_mul_f64 v[10:11], v[8:9], v[18:19]
	v_fmac_f64_e32 v[10:11], v[6:7], v[16:17]
	v_mul_f64 v[6:7], v[6:7], v[18:19]
	scratch_store_dwordx4 off, v[16:19], off offset:216 ; 16-byte Folded Spill
	v_fma_f64 v[12:13], v[8:9], v[16:17], -v[6:7]
	global_load_dwordx4 v[6:9], v[0:1], off
	v_add_co_u32_e32 v16, vcc, s4, v128
	ds_write_b128 v232, v[10:13] offset:18720
	s_nop 0
	v_addc_co_u32_e32 v17, vcc, 0, v129, vcc
	global_load_dwordx4 v[18:21], v[16:17], off offset:352
	v_mad_u64_u32 v[0:1], s[4:5], s8, v230, v[0:1]
	v_add_u32_e32 v1, s3, v1
                                        ; kill: killed $vgpr16 killed $vgpr17
	s_waitcnt vmcnt(0)
	v_mul_f64 v[10:11], v[8:9], v[20:21]
	v_fmac_f64_e32 v[10:11], v[6:7], v[18:19]
	v_mul_f64 v[6:7], v[6:7], v[20:21]
	v_fma_f64 v[12:13], v[8:9], v[18:19], -v[6:7]
	scratch_store_dwordx4 off, v[18:21], off offset:232 ; 16-byte Folded Spill
	ds_write_b128 v232, v[10:13] offset:33120
	global_load_dwordx4 v[6:9], v[0:1], off
	global_load_dwordx4 v[18:21], v[14:15], off offset:1664
	s_waitcnt vmcnt(0)
	v_mul_f64 v[10:11], v[8:9], v[20:21]
	v_fmac_f64_e32 v[10:11], v[6:7], v[18:19]
	v_mul_f64 v[6:7], v[6:7], v[20:21]
	v_fma_f64 v[12:13], v[8:9], v[18:19], -v[6:7]
	ds_write_b128 v232, v[10:13] offset:5760
	v_mad_u64_u32 v[10:11], s[4:5], s8, v204, v[0:1]
	scratch_store_dwordx4 off, v[18:21], off offset:248 ; 16-byte Folded Spill
	v_add_u32_e32 v11, s2, v11
	global_load_dwordx4 v[6:9], v[10:11], off
	global_load_dwordx4 v[18:21], v[2:3], off offset:3776
	v_mad_u64_u32 v[10:11], s[4:5], s8, v204, v[10:11]
	v_add_u32_e32 v11, s2, v11
	s_waitcnt vmcnt(0)
	v_mul_f64 v[0:1], v[8:9], v[20:21]
	v_mul_f64 v[2:3], v[6:7], v[20:21]
	v_fmac_f64_e32 v[0:1], v[6:7], v[18:19]
	v_fma_f64 v[2:3], v[8:9], v[18:19], -v[2:3]
	scratch_store_dwordx4 off, v[18:21], off offset:296 ; 16-byte Folded Spill
	ds_write_b128 v232, v[0:3] offset:20160
	global_load_dwordx4 v[0:3], v[10:11], off
	global_load_dwordx4 v[18:21], v[16:17], off offset:1792
	v_mad_u64_u32 v[10:11], s[4:5], s8, v230, v[10:11]
	v_add_u32_e32 v11, s3, v11
	s_waitcnt vmcnt(0)
	v_mul_f64 v[6:7], v[2:3], v[20:21]
	v_fmac_f64_e32 v[6:7], v[0:1], v[18:19]
	v_mul_f64 v[0:1], v[0:1], v[20:21]
	v_fma_f64 v[8:9], v[2:3], v[18:19], -v[0:1]
	scratch_store_dwordx4 off, v[18:21], off offset:264 ; 16-byte Folded Spill
	ds_write_b128 v232, v[6:9] offset:34560
	global_load_dwordx4 v[0:3], v[10:11], off
	global_load_dwordx4 v[18:21], v[14:15], off offset:3104
	v_mad_u64_u32 v[10:11], s[4:5], s8, v204, v[10:11]
	s_movk_i32 s4, 0x5000
	s_nop 0
	v_add_co_u32_e32 v12, vcc, s4, v128
	v_add_u32_e32 v11, s2, v11
	s_nop 0
	v_addc_co_u32_e32 v13, vcc, 0, v129, vcc
	v_add_co_u32_e32 v14, vcc, s28, v128
                                        ; kill: killed $vgpr12 killed $vgpr13
	s_waitcnt vmcnt(0)
	v_mul_f64 v[6:7], v[2:3], v[20:21]
	v_fmac_f64_e32 v[6:7], v[0:1], v[18:19]
	v_mul_f64 v[0:1], v[0:1], v[20:21]
	scratch_store_dwordx4 off, v[18:21], off offset:280 ; 16-byte Folded Spill
	v_fma_f64 v[8:9], v[2:3], v[18:19], -v[0:1]
	global_load_dwordx4 v[0:3], v[10:11], off
	global_load_dwordx4 v[18:21], v[12:13], off offset:1120
	ds_write_b128 v232, v[6:9] offset:7200
	v_mad_u64_u32 v[10:11], s[4:5], s8, v204, v[10:11]
	v_add_u32_e32 v11, s2, v11
	s_mov_b64 s[4:5], 0x21c
	v_lshl_add_u64 v[140:141], v[130:131], 0, s[4:5]
	v_addc_co_u32_e32 v15, vcc, 0, v129, vcc
	s_waitcnt vmcnt(0)
	v_mul_f64 v[6:7], v[2:3], v[20:21]
	v_fmac_f64_e32 v[6:7], v[0:1], v[18:19]
	v_mul_f64 v[0:1], v[0:1], v[20:21]
	v_fma_f64 v[8:9], v[2:3], v[18:19], -v[0:1]
	scratch_store_dwordx4 off, v[18:21], off offset:312 ; 16-byte Folded Spill
	ds_write_b128 v232, v[6:9] offset:21600
	global_load_dwordx4 v[0:3], v[10:11], off
	global_load_dwordx4 v[18:21], v[16:17], off offset:3232
	v_mad_u64_u32 v[10:11], s[4:5], s8, v230, v[10:11]
	v_add_u32_e32 v11, s3, v11
	s_waitcnt vmcnt(0)
	v_mul_f64 v[6:7], v[2:3], v[20:21]
	v_fmac_f64_e32 v[6:7], v[0:1], v[18:19]
	v_mul_f64 v[0:1], v[0:1], v[20:21]
	scratch_store_dwordx4 off, v[18:21], off offset:328 ; 16-byte Folded Spill
	v_fma_f64 v[8:9], v[2:3], v[18:19], -v[0:1]
	global_load_dwordx4 v[0:3], v[10:11], off
	global_load_dwordx4 v[16:19], v[14:15], off offset:448
	ds_write_b128 v232, v[6:9] offset:36000
	v_mad_u64_u32 v[10:11], s[4:5], s8, v204, v[10:11]
	v_add_u32_e32 v11, s2, v11
	s_waitcnt vmcnt(0)
	v_mul_f64 v[6:7], v[2:3], v[18:19]
	v_fmac_f64_e32 v[6:7], v[0:1], v[16:17]
	v_mul_f64 v[0:1], v[0:1], v[18:19]
	v_fma_f64 v[8:9], v[2:3], v[16:17], -v[0:1]
	scratch_store_dwordx4 off, v[16:19], off offset:360 ; 16-byte Folded Spill
	ds_write_b128 v232, v[6:9] offset:8640
	global_load_dwordx4 v[0:3], v[10:11], off
	global_load_dwordx4 v[16:19], v[12:13], off offset:2560
	v_mad_u64_u32 v[10:11], s[4:5], s8, v204, v[10:11]
	s_mov_b32 s4, 0x9000
	v_add_u32_e32 v11, s2, v11
	s_waitcnt vmcnt(0)
	v_mul_f64 v[6:7], v[2:3], v[18:19]
	v_fmac_f64_e32 v[6:7], v[0:1], v[16:17]
	v_mul_f64 v[0:1], v[0:1], v[18:19]
	scratch_store_dwordx4 off, v[16:19], off offset:344 ; 16-byte Folded Spill
	v_fma_f64 v[8:9], v[2:3], v[16:17], -v[0:1]
	global_load_dwordx4 v[0:3], v[10:11], off
	v_add_co_u32_e32 v16, vcc, s4, v128
	ds_write_b128 v232, v[6:9] offset:23040
	s_nop 0
	v_addc_co_u32_e32 v17, vcc, 0, v129, vcc
	global_load_dwordx4 v[18:21], v[16:17], off offset:576
	s_mov_b64 s[4:5], 0x276
	v_lshl_add_u64 v[138:139], v[130:131], 0, s[4:5]
	v_mad_u64_u32 v[10:11], s[4:5], s8, v230, v[10:11]
	v_add_u32_e32 v11, s3, v11
	s_waitcnt vmcnt(0)
	v_mul_f64 v[6:7], v[2:3], v[20:21]
	v_fmac_f64_e32 v[6:7], v[0:1], v[18:19]
	v_mul_f64 v[0:1], v[0:1], v[20:21]
	v_fma_f64 v[8:9], v[2:3], v[18:19], -v[0:1]
	scratch_store_dwordx4 off, v[18:21], off offset:392 ; 16-byte Folded Spill
	ds_write_b128 v232, v[6:9] offset:37440
	global_load_dwordx4 v[0:3], v[10:11], off
	global_load_dwordx4 v[18:21], v[14:15], off offset:1888
	v_mad_u64_u32 v[10:11], s[4:5], s8, v204, v[10:11]
	v_add_u32_e32 v11, s2, v11
	s_waitcnt vmcnt(0)
	v_mul_f64 v[6:7], v[2:3], v[20:21]
	v_fmac_f64_e32 v[6:7], v[0:1], v[18:19]
	v_mul_f64 v[0:1], v[0:1], v[20:21]
	v_fma_f64 v[8:9], v[2:3], v[18:19], -v[0:1]
	scratch_store_dwordx4 off, v[18:21], off offset:408 ; 16-byte Folded Spill
	ds_write_b128 v232, v[6:9] offset:10080
	global_load_dwordx4 v[0:3], v[10:11], off
	global_load_dwordx4 v[18:21], v[12:13], off offset:4000
	v_mad_u64_u32 v[10:11], s[4:5], s8, v204, v[10:11]
	v_add_u32_e32 v11, s2, v11
	s_mov_b64 s[4:5], 0x2d0
	v_lshl_add_u64 v[136:137], v[130:131], 0, s[4:5]
	s_waitcnt vmcnt(0)
	v_mul_f64 v[6:7], v[2:3], v[20:21]
	v_fmac_f64_e32 v[6:7], v[0:1], v[18:19]
	v_mul_f64 v[0:1], v[0:1], v[20:21]
	v_fma_f64 v[8:9], v[2:3], v[18:19], -v[0:1]
	scratch_store_dwordx4 off, v[18:21], off offset:440 ; 16-byte Folded Spill
	ds_write_b128 v232, v[6:9] offset:24480
	global_load_dwordx4 v[0:3], v[10:11], off
	global_load_dwordx4 v[18:21], v[16:17], off offset:2016
	v_mad_u64_u32 v[10:11], s[4:5], s8, v230, v[10:11]
	v_add_u32_e32 v11, s3, v11
	s_waitcnt vmcnt(0)
	v_mul_f64 v[6:7], v[2:3], v[20:21]
	v_fmac_f64_e32 v[6:7], v[0:1], v[18:19]
	v_mul_f64 v[0:1], v[0:1], v[20:21]
	v_fma_f64 v[8:9], v[2:3], v[18:19], -v[0:1]
	scratch_store_dwordx4 off, v[18:21], off offset:376 ; 16-byte Folded Spill
	ds_write_b128 v232, v[6:9] offset:38880
	global_load_dwordx4 v[0:3], v[10:11], off
	s_nop 0
	global_load_dwordx4 v[12:15], v[14:15], off offset:3328
	s_waitcnt vmcnt(0)
	v_mul_f64 v[6:7], v[2:3], v[14:15]
	v_fmac_f64_e32 v[6:7], v[0:1], v[12:13]
	v_mul_f64 v[0:1], v[0:1], v[14:15]
	scratch_store_dwordx4 off, v[12:15], off offset:424 ; 16-byte Folded Spill
	v_fma_f64 v[8:9], v[2:3], v[12:13], -v[0:1]
	ds_write_b128 v232, v[6:9] offset:11520
	v_mad_u64_u32 v[12:13], s[4:5], s8, v204, v[10:11]
	s_movk_i32 s4, 0x6000
	s_nop 0
	v_add_co_u32_e32 v6, vcc, s4, v128
	v_add_u32_e32 v13, s2, v13
	s_nop 0
	v_addc_co_u32_e32 v7, vcc, 0, v129, vcc
	global_load_dwordx4 v[0:3], v[12:13], off
	global_load_dwordx4 v[18:21], v[6:7], off offset:1344
	v_mad_u64_u32 v[12:13], s[4:5], s8, v204, v[12:13]
	v_add_u32_e32 v13, s2, v13
	s_mov_b64 s[4:5], 0x32a
	v_lshl_add_u64 v[202:203], v[130:131], 0, s[4:5]
	s_waitcnt vmcnt(0)
	v_mul_f64 v[8:9], v[2:3], v[20:21]
	v_fmac_f64_e32 v[8:9], v[0:1], v[18:19]
	v_mul_f64 v[0:1], v[0:1], v[20:21]
	v_fma_f64 v[10:11], v[2:3], v[18:19], -v[0:1]
	scratch_store_dwordx4 off, v[18:21], off offset:472 ; 16-byte Folded Spill
	ds_write_b128 v232, v[8:11] offset:25920
	global_load_dwordx4 v[0:3], v[12:13], off
	s_nop 0
	global_load_dwordx4 v[14:17], v[16:17], off offset:3456
	s_waitcnt vmcnt(0)
	v_mul_f64 v[8:9], v[2:3], v[16:17]
	v_fmac_f64_e32 v[8:9], v[0:1], v[14:15]
	v_mul_f64 v[0:1], v[0:1], v[16:17]
	v_fma_f64 v[10:11], v[2:3], v[14:15], -v[0:1]
	ds_write_b128 v232, v[8:11] offset:40320
	v_mad_u64_u32 v[8:9], s[4:5], s8, v230, v[12:13]
	scratch_store_dwordx4 off, v[14:17], off offset:456 ; 16-byte Folded Spill
	v_add_u32_e32 v9, s3, v9
	global_load_dwordx4 v[0:3], v[8:9], off
	global_load_dwordx4 v[12:15], v[4:5], off offset:672
	v_mad_u64_u32 v[8:9], s[4:5], s8, v204, v[8:9]
	v_add_u32_e32 v9, s2, v9
	s_waitcnt vmcnt(0)
	v_mul_f64 v[10:11], v[2:3], v[14:15]
	v_fmac_f64_e32 v[10:11], v[0:1], v[12:13]
	v_mul_f64 v[0:1], v[0:1], v[14:15]
	scratch_store_dwordx4 off, v[12:15], off offset:488 ; 16-byte Folded Spill
	s_nop 1
	v_fma_f64 v[12:13], v[2:3], v[12:13], -v[0:1]
	ds_write_b128 v232, v[10:13] offset:12960
	global_load_dwordx4 v[0:3], v[8:9], off
	global_load_dwordx4 v[10:13], v[6:7], off offset:2784
	s_waitcnt vmcnt(0)
	v_mul_f64 v[4:5], v[2:3], v[12:13]
	v_fmac_f64_e32 v[4:5], v[0:1], v[10:11]
	v_mul_f64 v[0:1], v[0:1], v[12:13]
	v_fma_f64 v[6:7], v[2:3], v[10:11], -v[0:1]
	v_mad_u64_u32 v[0:1], s[4:5], s8, v204, v[8:9]
	v_add_u32_e32 v1, s2, v1
	s_mov_b32 s2, 0xa000
	v_add_co_u32_e32 v254, vcc, s2, v128
	ds_write_b128 v232, v[4:7] offset:27360
	s_nop 0
	v_addc_co_u32_e32 v255, vcc, 0, v129, vcc
	global_load_dwordx4 v[4:7], v[254:255], off offset:800
	s_mov_b32 s2, 0xe8584caa
	global_load_dwordx4 v[0:3], v[0:1], off
	s_mov_b32 s3, 0x3febb67a
	scratch_store_dwordx4 off, v[10:13], off offset:504 ; 16-byte Folded Spill
	s_mov_b32 s5, 0xbfebb67a
	s_mov_b32 s4, s2
	s_movk_i32 s8, 0xab
	s_waitcnt vmcnt(2)
	v_mov_b64_e32 v[8:9], v[6:7]
	v_mov_b64_e32 v[6:7], v[4:5]
	s_waitcnt vmcnt(1)
	v_mul_f64 v[4:5], v[2:3], v[8:9]
	v_fmac_f64_e32 v[4:5], v[0:1], v[6:7]
	v_mul_f64 v[0:1], v[0:1], v[8:9]
	scratch_store_dwordx4 off, v[6:9], off offset:56 ; 16-byte Folded Spill
	s_nop 1
	v_fma_f64 v[6:7], v[2:3], v[6:7], -v[0:1]
	ds_write_b128 v232, v[4:7] offset:41760
	s_waitcnt lgkmcnt(0)
	s_barrier
	ds_read_b128 v[36:39], v232
	ds_read_b128 v[56:59], v232 offset:14400
	ds_read_b128 v[76:79], v232 offset:28800
	;; [unrolled: 1-line block ×29, first 2 shown]
	s_waitcnt lgkmcnt(14)
	v_add_f64 v[104:105], v[36:37], v[56:57]
	v_add_f64 v[108:109], v[104:105], v[76:77]
	;; [unrolled: 1-line block ×3, first 2 shown]
	v_fmac_f64_e32 v[36:37], -0.5, v[104:105]
	v_add_f64 v[106:107], v[58:59], -v[78:79]
	v_fma_f64 v[104:105], s[2:3], v[106:107], v[36:37]
	v_fmac_f64_e32 v[36:37], s[4:5], v[106:107]
	v_add_f64 v[106:107], v[38:39], v[58:59]
	v_add_f64 v[58:59], v[58:59], v[78:79]
	v_fmac_f64_e32 v[38:39], -0.5, v[58:59]
	v_add_f64 v[56:57], v[56:57], -v[76:77]
	v_add_f64 v[110:111], v[106:107], v[78:79]
	v_fma_f64 v[106:107], s[4:5], v[56:57], v[38:39]
	v_fmac_f64_e32 v[38:39], s[2:3], v[56:57]
	v_add_f64 v[56:57], v[4:5], v[40:41]
	v_add_f64 v[76:77], v[56:57], v[44:45]
	;; [unrolled: 1-line block ×3, first 2 shown]
	v_fmac_f64_e32 v[4:5], -0.5, v[56:57]
	v_add_f64 v[58:59], v[42:43], -v[46:47]
	v_fma_f64 v[56:57], s[2:3], v[58:59], v[4:5]
	v_fmac_f64_e32 v[4:5], s[4:5], v[58:59]
	v_add_f64 v[58:59], v[6:7], v[42:43]
	v_add_f64 v[42:43], v[42:43], v[46:47]
	v_fmac_f64_e32 v[6:7], -0.5, v[42:43]
	v_add_f64 v[40:41], v[40:41], -v[44:45]
	v_add_f64 v[78:79], v[58:59], v[46:47]
	v_fma_f64 v[58:59], s[4:5], v[40:41], v[6:7]
	v_fmac_f64_e32 v[6:7], s[2:3], v[40:41]
	v_add_f64 v[40:41], v[0:1], v[48:49]
	v_add_f64 v[44:45], v[40:41], v[52:53]
	;; [unrolled: 1-line block ×3, first 2 shown]
	v_fmac_f64_e32 v[0:1], -0.5, v[40:41]
	v_add_f64 v[42:43], v[50:51], -v[54:55]
	v_fma_f64 v[40:41], s[2:3], v[42:43], v[0:1]
	v_fmac_f64_e32 v[0:1], s[4:5], v[42:43]
	v_add_f64 v[42:43], v[2:3], v[50:51]
	v_add_f64 v[46:47], v[42:43], v[54:55]
	;; [unrolled: 1-line block ×3, first 2 shown]
	v_fmac_f64_e32 v[2:3], -0.5, v[42:43]
	v_add_f64 v[48:49], v[48:49], -v[52:53]
	v_add_f64 v[50:51], v[60:61], v[64:65]
	v_fma_f64 v[42:43], s[4:5], v[48:49], v[2:3]
	v_fmac_f64_e32 v[2:3], s[2:3], v[48:49]
	v_add_f64 v[48:49], v[8:9], v[60:61]
	v_fmac_f64_e32 v[8:9], -0.5, v[50:51]
	v_add_f64 v[50:51], v[62:63], -v[66:67]
	v_add_f64 v[54:55], v[62:63], v[66:67]
	v_fma_f64 v[52:53], s[2:3], v[50:51], v[8:9]
	v_fmac_f64_e32 v[8:9], s[4:5], v[50:51]
	v_add_f64 v[50:51], v[10:11], v[62:63]
	v_fmac_f64_e32 v[10:11], -0.5, v[54:55]
	v_add_f64 v[60:61], v[60:61], -v[64:65]
	v_add_f64 v[62:63], v[80:81], v[84:85]
	v_add_f64 v[50:51], v[50:51], v[66:67]
	v_fma_f64 v[54:55], s[4:5], v[60:61], v[10:11]
	v_fmac_f64_e32 v[10:11], s[2:3], v[60:61]
	v_add_f64 v[60:61], v[12:13], v[80:81]
	v_fmac_f64_e32 v[12:13], -0.5, v[62:63]
	v_add_f64 v[62:63], v[82:83], -v[86:87]
	v_add_f64 v[66:67], v[82:83], v[86:87]
	v_add_f64 v[48:49], v[48:49], v[64:65]
	v_fma_f64 v[64:65], s[2:3], v[62:63], v[12:13]
	v_fmac_f64_e32 v[12:13], s[4:5], v[62:63]
	v_add_f64 v[62:63], v[14:15], v[82:83]
	v_fmac_f64_e32 v[14:15], -0.5, v[66:67]
	v_add_f64 v[80:81], v[80:81], -v[84:85]
	v_fma_f64 v[66:67], s[4:5], v[80:81], v[14:15]
	v_fmac_f64_e32 v[14:15], s[2:3], v[80:81]
	s_waitcnt lgkmcnt(13)
	v_add_f64 v[80:81], v[24:25], v[96:97]
	v_add_f64 v[60:61], v[60:61], v[84:85]
	s_waitcnt lgkmcnt(12)
	v_add_f64 v[84:85], v[80:81], v[100:101]
	v_add_f64 v[80:81], v[96:97], v[100:101]
	v_fmac_f64_e32 v[24:25], -0.5, v[80:81]
	v_add_f64 v[82:83], v[98:99], -v[102:103]
	v_fma_f64 v[80:81], s[2:3], v[82:83], v[24:25]
	v_fmac_f64_e32 v[24:25], s[4:5], v[82:83]
	v_add_f64 v[82:83], v[26:27], v[98:99]
	v_add_f64 v[62:63], v[62:63], v[86:87]
	;; [unrolled: 1-line block ×4, first 2 shown]
	v_fmac_f64_e32 v[26:27], -0.5, v[82:83]
	v_add_f64 v[96:97], v[96:97], -v[100:101]
	v_fma_f64 v[82:83], s[4:5], v[96:97], v[26:27]
	v_fmac_f64_e32 v[26:27], s[2:3], v[96:97]
	s_waitcnt lgkmcnt(10)
	v_add_f64 v[96:97], v[32:33], v[120:121]
	s_waitcnt lgkmcnt(9)
	v_add_f64 v[100:101], v[96:97], v[124:125]
	v_add_f64 v[96:97], v[120:121], v[124:125]
	v_fmac_f64_e32 v[32:33], -0.5, v[96:97]
	v_add_f64 v[98:99], v[122:123], -v[126:127]
	v_fma_f64 v[96:97], s[2:3], v[98:99], v[32:33]
	v_fmac_f64_e32 v[32:33], s[4:5], v[98:99]
	v_add_f64 v[98:99], v[34:35], v[122:123]
	v_add_f64 v[102:103], v[98:99], v[126:127]
	;; [unrolled: 1-line block ×3, first 2 shown]
	v_fmac_f64_e32 v[34:35], -0.5, v[98:99]
	v_add_f64 v[120:121], v[120:121], -v[124:125]
	v_fma_f64 v[98:99], s[4:5], v[120:121], v[34:35]
	v_fmac_f64_e32 v[34:35], s[2:3], v[120:121]
	s_waitcnt lgkmcnt(7)
	v_add_f64 v[120:121], v[28:29], v[112:113]
	s_waitcnt lgkmcnt(6)
	v_add_f64 v[124:125], v[120:121], v[116:117]
	v_add_f64 v[120:121], v[112:113], v[116:117]
	v_fmac_f64_e32 v[28:29], -0.5, v[120:121]
	v_add_f64 v[122:123], v[114:115], -v[118:119]
	v_fma_f64 v[120:121], s[2:3], v[122:123], v[28:29]
	v_fmac_f64_e32 v[28:29], s[4:5], v[122:123]
	v_add_f64 v[122:123], v[30:31], v[114:115]
	v_add_f64 v[114:115], v[114:115], v[118:119]
	v_fmac_f64_e32 v[30:31], -0.5, v[114:115]
	v_add_f64 v[112:113], v[112:113], -v[116:117]
	v_add_f64 v[126:127], v[122:123], v[118:119]
	v_fma_f64 v[122:123], s[4:5], v[112:113], v[30:31]
	v_fmac_f64_e32 v[30:31], s[2:3], v[112:113]
	s_waitcnt lgkmcnt(4)
	v_add_f64 v[112:113], v[20:21], v[88:89]
	s_waitcnt lgkmcnt(3)
	v_add_f64 v[116:117], v[112:113], v[92:93]
	v_add_f64 v[112:113], v[88:89], v[92:93]
	v_fmac_f64_e32 v[20:21], -0.5, v[112:113]
	v_add_f64 v[114:115], v[90:91], -v[94:95]
	v_fma_f64 v[112:113], s[2:3], v[114:115], v[20:21]
	v_fmac_f64_e32 v[20:21], s[4:5], v[114:115]
	v_add_f64 v[114:115], v[22:23], v[90:91]
	v_add_f64 v[90:91], v[90:91], v[94:95]
	v_fmac_f64_e32 v[22:23], -0.5, v[90:91]
	v_add_f64 v[88:89], v[88:89], -v[92:93]
	v_add_f64 v[118:119], v[114:115], v[94:95]
	;; [unrolled: 16-line block ×3, first 2 shown]
	v_fma_f64 v[90:91], s[4:5], v[68:69], v[18:19]
	v_fmac_f64_e32 v[18:19], s[2:3], v[68:69]
	v_mul_lo_u16_e32 v68, 3, v130
	v_lshlrev_b32_e32 v68, 4, v68
	s_barrier
	ds_write_b128 v68, v[108:111]
	scratch_store_dword off, v68, off offset:8 ; 4-byte Folded Spill
	ds_write_b128 v68, v[104:107] offset:16
	ds_write_b128 v68, v[36:39] offset:32
	v_mul_u32_u24_e32 v36, 3, v142
	v_lshlrev_b32_e32 v36, 4, v36
	ds_write_b128 v36, v[76:79]
	ds_write_b128 v36, v[56:59] offset:16
	ds_write_b128 v36, v[4:7] offset:32
	v_mul_u32_u24_e32 v4, 3, v144
	v_lshlrev_b32_e32 v4, 4, v4
	scratch_store_dword off, v36, off offset:32 ; 4-byte Folded Spill
	scratch_store_dword off, v4, off offset:36 ; 4-byte Folded Spill
	ds_write_b128 v4, v[44:47]
	ds_write_b128 v4, v[40:43] offset:16
	ds_write_b128 v4, v[0:3] offset:32
	v_mul_u32_u24_e32 v0, 3, v234
	v_lshlrev_b32_e32 v0, 4, v0
	scratch_store_dword off, v0, off offset:20 ; 4-byte Folded Spill
	ds_write_b128 v0, v[48:51]
	ds_write_b128 v0, v[52:55] offset:16
	ds_write_b128 v0, v[8:11] offset:32
	v_mul_u32_u24_e32 v0, 3, v236
	v_lshlrev_b32_e32 v0, 4, v0
	;; [unrolled: 6-line block ×5, first 2 shown]
	scratch_store_dword off, v0, off offset:4 ; 4-byte Folded Spill
	ds_write_b128 v0, v[124:127]
	ds_write_b128 v0, v[120:123] offset:16
	ds_write_b128 v0, v[28:31] offset:32
	v_mul_lo_u16_sdwa v120, v130, s8 dst_sel:DWORD dst_unused:UNUSED_PAD src0_sel:BYTE_0 src1_sel:DWORD
	v_lshrrev_b16_e32 v132, 9, v120
	v_mul_u32_u24_e32 v0, 3, v136
	v_mul_lo_u16_e32 v120, 3, v132
	v_lshlrev_b32_e32 v0, 4, v0
	v_sub_u16_e32 v120, v130, v120
	scratch_store_dword off, v0, off        ; 4-byte Folded Spill
	ds_write_b128 v0, v[116:119]
	ds_write_b128 v0, v[112:115] offset:16
	ds_write_b128 v0, v[20:23] offset:32
	v_mul_u32_u24_e32 v0, 3, v202
	v_and_b32_e32 v133, 0xff, v120
	v_mov_b64_e32 v[120:121], s[6:7]
	v_lshlrev_b32_e32 v0, 4, v0
	v_mad_u64_u32 v[122:123], s[10:11], v133, s24, v[120:121]
	scratch_store_dword off, v0, off offset:12 ; 4-byte Folded Spill
	ds_write_b128 v0, v[92:95]
	ds_write_b128 v0, v[88:91] offset:16
	ds_write_b128 v0, v[16:19] offset:32
	s_waitcnt lgkmcnt(0)
	s_barrier
	ds_read_b128 v[40:43], v232
	ds_read_b128 v[116:119], v232 offset:4320
	ds_read_b128 v[112:115], v232 offset:8640
	;; [unrolled: 1-line block ×29, first 2 shown]
	global_load_dwordx4 v[152:155], v[122:123], off offset:48
	global_load_dwordx4 v[148:151], v[122:123], off offset:32
	;; [unrolled: 1-line block ×3, first 2 shown]
	global_load_dwordx4 v[160:163], v[122:123], off
	s_mov_b32 s10, 0x134454ff
	s_mov_b32 s11, 0x3fee6f0e
	;; [unrolled: 1-line block ×3, first 2 shown]
	s_waitcnt vmcnt(3)
	scratch_store_dwordx4 off, v[152:155], off offset:520 ; 16-byte Folded Spill
	s_waitcnt vmcnt(2)
	scratch_store_dwordx4 off, v[156:159], off offset:552 ; 16-byte Folded Spill
	s_waitcnt vmcnt(2) lgkmcnt(14)
	v_mul_f64 v[124:125], v[118:119], v[162:163]
	v_mul_f64 v[146:147], v[116:117], v[162:163]
	scratch_store_dwordx4 off, v[160:163], off offset:568 ; 16-byte Folded Spill
	v_fma_f64 v[126:127], v[116:117], v[160:161], -v[124:125]
	v_fmac_f64_e32 v[146:147], v[118:119], v[160:161]
	v_mul_f64 v[116:117], v[114:115], v[158:159]
	v_mul_f64 v[160:161], v[112:113], v[158:159]
	v_fma_f64 v[168:169], v[112:113], v[156:157], -v[116:117]
	v_fmac_f64_e32 v[160:161], v[114:115], v[156:157]
	v_mov_b64_e32 v[114:115], v[148:149]
	v_mov_b64_e32 v[116:117], v[150:151]
	v_mul_f64 v[112:113], v[110:111], v[116:117]
	scratch_store_dwordx4 off, v[114:117], off offset:536 ; 16-byte Folded Spill
	v_fma_f64 v[150:151], v[108:109], v[114:115], -v[112:113]
	v_mul_f64 v[148:149], v[108:109], v[116:117]
	v_mul_f64 v[108:109], v[106:107], v[154:155]
	;; [unrolled: 1-line block ×3, first 2 shown]
	v_fmac_f64_e32 v[148:149], v[110:111], v[114:115]
	v_fma_f64 v[170:171], v[104:105], v[152:153], -v[108:109]
	v_fmac_f64_e32 v[162:163], v[106:107], v[152:153]
	global_load_dwordx4 v[106:109], v[122:123], off offset:112
	global_load_dwordx4 v[110:113], v[122:123], off offset:96
	;; [unrolled: 1-line block ×4, first 2 shown]
	s_waitcnt vmcnt(3)
	v_mul_f64 v[174:175], v[88:89], v[108:109]
	v_fmac_f64_e32 v[174:175], v[90:91], v[106:107]
	s_waitcnt vmcnt(1)
	v_mul_f64 v[172:173], v[96:97], v[116:117]
	s_waitcnt vmcnt(0)
	v_mul_f64 v[104:105], v[102:103], v[154:155]
	v_mov_b64_e32 v[156:157], v[154:155]
	v_fma_f64 v[158:159], v[100:101], v[152:153], -v[104:105]
	v_mov_b64_e32 v[154:155], v[152:153]
	v_mul_f64 v[152:153], v[100:101], v[156:157]
	v_mul_f64 v[100:101], v[98:99], v[116:117]
	v_accvgpr_write_b32 a167, v157
	v_fma_f64 v[176:177], v[96:97], v[114:115], -v[100:101]
	v_mul_f64 v[96:97], v[94:95], v[112:113]
	v_fmac_f64_e32 v[152:153], v[102:103], v[154:155]
	v_accvgpr_write_b32 a166, v156
	v_accvgpr_write_b32 a165, v155
	;; [unrolled: 1-line block ×3, first 2 shown]
	v_fma_f64 v[164:165], v[92:93], v[110:111], -v[96:97]
	v_mul_f64 v[154:155], v[92:93], v[112:113]
	v_mul_f64 v[92:93], v[90:91], v[108:109]
	v_fma_f64 v[178:179], v[88:89], v[106:107], -v[92:93]
	global_load_dwordx4 v[90:93], v[122:123], off offset:128
	v_fmac_f64_e32 v[172:173], v[98:99], v[114:115]
	scratch_store_dwordx4 off, v[114:117], off offset:640 ; 16-byte Folded Spill
	scratch_store_dwordx4 off, v[110:113], off offset:624 ; 16-byte Folded Spill
	;; [unrolled: 1-line block ×3, first 2 shown]
	v_fmac_f64_e32 v[154:155], v[94:95], v[110:111]
	s_waitcnt vmcnt(3)
	v_mul_f64 v[88:89], v[86:87], v[92:93]
	v_fma_f64 v[166:167], v[84:85], v[90:91], -v[88:89]
	v_mul_f64 v[156:157], v[84:85], v[92:93]
	v_mul_lo_u16_sdwa v84, v142, s8 dst_sel:DWORD dst_unused:UNUSED_PAD src0_sel:BYTE_0 src1_sel:DWORD
	v_lshrrev_b16_e32 v134, 9, v84
	v_mul_lo_u16_e32 v84, 3, v134
	v_sub_u16_e32 v84, v142, v84
	v_and_b32_e32 v135, 0xff, v84
	scratch_store_dwordx4 off, v[90:93], off offset:584 ; 16-byte Folded Spill
	v_mad_u64_u32 v[84:85], s[8:9], v135, s24, v[120:121]
	v_fmac_f64_e32 v[156:157], v[86:87], v[90:91]
	global_load_dwordx4 v[88:91], v[84:85], off offset:48
	global_load_dwordx4 v[92:95], v[84:85], off offset:32
	;; [unrolled: 1-line block ×3, first 2 shown]
	global_load_dwordx4 v[100:103], v[84:85], off
	s_mov_b32 s8, 0xaaab
	s_waitcnt vmcnt(3)
	v_accvgpr_write_b32 a229, v91
	s_waitcnt vmcnt(2)
	v_accvgpr_write_b32 a237, v95
	;; [unrolled: 2-line block ×3, first 2 shown]
	s_waitcnt vmcnt(0)
	v_mul_f64 v[86:87], v[82:83], v[102:103]
	v_fma_f64 v[122:123], v[80:81], v[100:101], -v[86:87]
	v_mul_f64 v[80:81], v[80:81], v[102:103]
	v_fmac_f64_e32 v[80:81], v[82:83], v[100:101]
	v_mul_f64 v[82:83], v[78:79], v[98:99]
	v_fma_f64 v[124:125], v[76:77], v[96:97], -v[82:83]
	v_mul_f64 v[82:83], v[76:77], v[98:99]
	v_mul_f64 v[76:77], v[74:75], v[94:95]
	v_fma_f64 v[76:77], v[72:73], v[92:93], -v[76:77]
	v_mul_f64 v[72:73], v[72:73], v[94:95]
	v_fmac_f64_e32 v[72:73], v[74:75], v[92:93]
	v_mul_f64 v[74:75], v[70:71], v[90:91]
	v_accvgpr_write_b32 a241, v103
	v_fmac_f64_e32 v[82:83], v[78:79], v[96:97]
	v_fma_f64 v[78:79], v[68:69], v[88:89], -v[74:75]
	v_mul_f64 v[74:75], v[68:69], v[90:91]
	v_accvgpr_write_b32 a240, v102
	v_accvgpr_write_b32 a239, v101
	;; [unrolled: 1-line block ×9, first 2 shown]
	v_fmac_f64_e32 v[74:75], v[70:71], v[88:89]
	v_accvgpr_write_b32 a228, v90
	v_accvgpr_write_b32 a227, v89
	;; [unrolled: 1-line block ×3, first 2 shown]
	global_load_dwordx4 v[86:89], v[84:85], off offset:112
	global_load_dwordx4 v[90:93], v[84:85], off offset:96
	;; [unrolled: 1-line block ×4, first 2 shown]
	s_waitcnt vmcnt(3)
	v_accvgpr_write_b32 a185, v89
	v_accvgpr_write_b32 a184, v88
	;; [unrolled: 1-line block ×3, first 2 shown]
	s_waitcnt vmcnt(0)
	v_mul_f64 v[68:69], v[66:67], v[100:101]
	v_fma_f64 v[68:69], v[64:65], v[98:99], -v[68:69]
	v_mul_f64 v[64:65], v[64:65], v[100:101]
	v_fmac_f64_e32 v[64:65], v[66:67], v[98:99]
	s_waitcnt lgkmcnt(13)
	v_mul_f64 v[66:67], v[62:63], v[96:97]
	v_fma_f64 v[70:71], v[60:61], v[94:95], -v[66:67]
	v_mul_f64 v[66:67], v[60:61], v[96:97]
	s_waitcnt lgkmcnt(12)
	v_mul_f64 v[60:61], v[58:59], v[92:93]
	v_fma_f64 v[60:61], v[56:57], v[90:91], -v[60:61]
	v_mul_f64 v[56:57], v[56:57], v[92:93]
	v_fmac_f64_e32 v[56:57], v[58:59], v[90:91]
	s_waitcnt lgkmcnt(11)
	v_mul_f64 v[58:59], v[54:55], v[88:89]
	v_fmac_f64_e32 v[66:67], v[62:63], v[94:95]
	v_fma_f64 v[62:63], v[52:53], v[86:87], -v[58:59]
	v_mul_f64 v[58:59], v[52:53], v[88:89]
	v_fmac_f64_e32 v[58:59], v[54:55], v[86:87]
	v_accvgpr_write_b32 a182, v86
	global_load_dwordx4 v[84:87], v[84:85], off offset:128
	v_accvgpr_write_b32 a217, v97
	v_accvgpr_write_b32 a209, v93
	;; [unrolled: 1-line block ×12, first 2 shown]
	s_waitcnt vmcnt(0) lgkmcnt(10)
	v_mul_f64 v[52:53], v[50:51], v[86:87]
	v_fma_f64 v[52:53], v[48:49], v[84:85], -v[52:53]
	v_mul_f64 v[48:49], v[48:49], v[86:87]
	v_fmac_f64_e32 v[48:49], v[50:51], v[84:85]
	v_mul_u32_u24_sdwa v50, v144, s8 dst_sel:DWORD dst_unused:UNUSED_PAD src0_sel:WORD_0 src1_sel:DWORD
	v_lshrrev_b32_e32 v137, 17, v50
	v_mul_lo_u16_e32 v50, 3, v137
	v_sub_u16_e32 v139, v144, v50
	v_mul_lo_u16_e32 v50, 0x90, v139
	v_mov_b32_e32 v51, v233
	v_accvgpr_write_b32 a181, v87
	v_lshl_add_u64 v[50:51], s[6:7], 0, v[50:51]
	v_accvgpr_write_b32 a180, v86
	v_accvgpr_write_b32 a179, v85
	;; [unrolled: 1-line block ×3, first 2 shown]
	global_load_dwordx4 v[86:89], v[50:51], off offset:48
	global_load_dwordx4 v[90:93], v[50:51], off offset:32
	;; [unrolled: 1-line block ×3, first 2 shown]
	global_load_dwordx4 v[104:107], v[50:51], off
	s_mov_b32 s8, 0x4755a5e
	s_mov_b32 s9, 0x3fe2cf23
	;; [unrolled: 1-line block ×3, first 2 shown]
	s_waitcnt vmcnt(3)
	v_accvgpr_write_b32 a197, v89
	v_accvgpr_write_b32 a196, v88
	;; [unrolled: 1-line block ×3, first 2 shown]
	s_waitcnt vmcnt(0) lgkmcnt(8)
	v_mul_f64 v[54:55], v[46:47], v[106:107]
	v_fma_f64 v[98:99], v[44:45], v[104:105], -v[54:55]
	v_mul_f64 v[102:103], v[44:45], v[106:107]
	s_waitcnt lgkmcnt(7)
	v_mul_f64 v[44:45], v[38:39], v[96:97]
	v_fmac_f64_e32 v[102:103], v[46:47], v[104:105]
	v_fma_f64 v[112:113], v[36:37], v[94:95], -v[44:45]
	v_mov_b64_e32 v[44:45], v[90:91]
	v_accvgpr_write_b32 a221, v107
	v_mov_b64_e32 v[46:47], v[92:93]
	v_accvgpr_write_b32 a220, v106
	v_accvgpr_write_b32 a219, v105
	;; [unrolled: 1-line block ×3, first 2 shown]
	v_mul_f64 v[104:105], v[36:37], v[96:97]
	s_waitcnt lgkmcnt(6)
	v_mul_f64 v[36:37], v[34:35], v[46:47]
	v_fma_f64 v[92:93], v[32:33], v[44:45], -v[36:37]
	v_mul_f64 v[84:85], v[32:33], v[46:47]
	v_accvgpr_write_b32 a201, v47
	s_waitcnt lgkmcnt(5)
	v_mul_f64 v[32:33], v[30:31], v[88:89]
	v_mul_f64 v[106:107], v[28:29], v[88:89]
	v_fmac_f64_e32 v[84:85], v[34:35], v[44:45]
	v_accvgpr_write_b32 a200, v46
	v_accvgpr_write_b32 a199, v45
	;; [unrolled: 1-line block ×3, first 2 shown]
	v_fma_f64 v[114:115], v[28:29], v[86:87], -v[32:33]
	v_fmac_f64_e32 v[106:107], v[30:31], v[86:87]
	v_accvgpr_write_b32 a194, v86
	global_load_dwordx4 v[30:33], v[50:51], off offset:112
	global_load_dwordx4 v[34:37], v[50:51], off offset:96
	;; [unrolled: 1-line block ×4, first 2 shown]
	v_accvgpr_write_b32 a213, v97
	v_fmac_f64_e32 v[104:105], v[38:39], v[94:95]
	v_accvgpr_write_b32 a212, v96
	v_accvgpr_write_b32 a211, v95
	v_accvgpr_write_b32 a210, v94
	s_waitcnt vmcnt(3) lgkmcnt(1)
	v_mul_f64 v[110:111], v[12:13], v[32:33]
	v_fmac_f64_e32 v[110:111], v[14:15], v[30:31]
	s_waitcnt vmcnt(1)
	v_mul_f64 v[108:109], v[20:21], v[46:47]
	s_waitcnt vmcnt(0)
	v_mul_f64 v[28:29], v[26:27], v[90:91]
	v_fma_f64 v[94:95], v[24:25], v[88:89], -v[28:29]
	v_mul_f64 v[86:87], v[24:25], v[90:91]
	v_mul_f64 v[24:25], v[22:23], v[46:47]
	v_accvgpr_write_b32 a205, v91
	v_fma_f64 v[116:117], v[20:21], v[44:45], -v[24:25]
	v_mul_f64 v[20:21], v[18:19], v[36:37]
	v_fmac_f64_e32 v[86:87], v[26:27], v[88:89]
	v_accvgpr_write_b32 a204, v90
	v_accvgpr_write_b32 a203, v89
	;; [unrolled: 1-line block ×3, first 2 shown]
	v_fma_f64 v[96:97], v[16:17], v[34:35], -v[20:21]
	v_mul_f64 v[88:89], v[16:17], v[36:37]
	v_mul_f64 v[16:17], v[14:15], v[32:33]
	v_fma_f64 v[118:119], v[12:13], v[30:31], -v[16:17]
	global_load_dwordx4 v[14:17], v[50:51], off offset:128
	v_accvgpr_write_b32 a177, v33
	v_accvgpr_write_b32 a176, v32
	;; [unrolled: 1-line block ×5, first 2 shown]
	v_fmac_f64_e32 v[88:89], v[18:19], v[34:35]
	v_accvgpr_write_b32 a188, v36
	v_accvgpr_write_b32 a187, v35
	;; [unrolled: 1-line block ×7, first 2 shown]
	v_fmac_f64_e32 v[108:109], v[22:23], v[44:45]
	v_add_f64 v[18:19], v[156:157], -v[154:155]
	s_waitcnt lgkmcnt(0)
	s_barrier
	s_waitcnt vmcnt(0)
	v_mul_f64 v[12:13], v[10:11], v[16:17]
	v_fma_f64 v[100:101], v[8:9], v[14:15], -v[12:13]
	v_mul_f64 v[90:91], v[8:9], v[16:17]
	v_add_f64 v[8:9], v[40:41], v[168:169]
	v_add_f64 v[8:9], v[8:9], v[170:171]
	;; [unrolled: 1-line block ×5, first 2 shown]
	v_accvgpr_write_b32 a173, v17
	v_fma_f64 v[30:31], -0.5, v[8:9], v[40:41]
	v_add_f64 v[8:9], v[160:161], -v[174:175]
	v_fmac_f64_e32 v[90:91], v[10:11], v[14:15]
	v_accvgpr_write_b32 a172, v16
	v_accvgpr_write_b32 a171, v15
	;; [unrolled: 1-line block ×3, first 2 shown]
	v_fma_f64 v[32:33], s[10:11], v[8:9], v[30:31]
	v_add_f64 v[10:11], v[162:163], -v[172:173]
	v_add_f64 v[12:13], v[168:169], -v[170:171]
	v_add_f64 v[14:15], v[178:179], -v[176:177]
	v_fmac_f64_e32 v[30:31], s[16:17], v[8:9]
	v_fmac_f64_e32 v[32:33], s[8:9], v[10:11]
	v_add_f64 v[12:13], v[12:13], v[14:15]
	v_fmac_f64_e32 v[30:31], s[14:15], v[10:11]
	v_fmac_f64_e32 v[32:33], s[12:13], v[12:13]
	v_fmac_f64_e32 v[30:31], s[12:13], v[12:13]
	v_add_f64 v[12:13], v[168:169], v[178:179]
	v_fmac_f64_e32 v[40:41], -0.5, v[12:13]
	v_fma_f64 v[38:39], s[16:17], v[10:11], v[40:41]
	v_fmac_f64_e32 v[40:41], s[10:11], v[10:11]
	v_fmac_f64_e32 v[38:39], s[8:9], v[8:9]
	v_fmac_f64_e32 v[40:41], s[14:15], v[8:9]
	v_add_f64 v[8:9], v[42:43], v[160:161]
	v_add_f64 v[8:9], v[8:9], v[162:163]
	v_add_f64 v[8:9], v[8:9], v[172:173]
	v_add_f64 v[12:13], v[170:171], -v[168:169]
	v_add_f64 v[14:15], v[176:177], -v[178:179]
	v_add_f64 v[34:35], v[8:9], v[174:175]
	v_add_f64 v[8:9], v[162:163], v[172:173]
	v_add_f64 v[12:13], v[12:13], v[14:15]
	v_fma_f64 v[50:51], -0.5, v[8:9], v[42:43]
	v_add_f64 v[8:9], v[168:169], -v[178:179]
	v_fmac_f64_e32 v[38:39], s[12:13], v[12:13]
	v_fmac_f64_e32 v[40:41], s[12:13], v[12:13]
	v_fma_f64 v[46:47], s[16:17], v[8:9], v[50:51]
	v_add_f64 v[10:11], v[170:171], -v[176:177]
	v_add_f64 v[12:13], v[160:161], -v[162:163]
	v_add_f64 v[14:15], v[174:175], -v[172:173]
	v_fmac_f64_e32 v[50:51], s[10:11], v[8:9]
	v_fmac_f64_e32 v[46:47], s[14:15], v[10:11]
	v_add_f64 v[12:13], v[12:13], v[14:15]
	v_fmac_f64_e32 v[50:51], s[8:9], v[10:11]
	v_fmac_f64_e32 v[46:47], s[12:13], v[12:13]
	v_fmac_f64_e32 v[50:51], s[12:13], v[12:13]
	v_add_f64 v[12:13], v[160:161], v[174:175]
	v_fmac_f64_e32 v[42:43], -0.5, v[12:13]
	v_fma_f64 v[54:55], s[10:11], v[10:11], v[42:43]
	v_fmac_f64_e32 v[42:43], s[16:17], v[10:11]
	v_fmac_f64_e32 v[54:55], s[14:15], v[8:9]
	v_fmac_f64_e32 v[42:43], s[8:9], v[8:9]
	v_add_f64 v[8:9], v[126:127], v[150:151]
	v_add_f64 v[8:9], v[8:9], v[158:159]
	v_add_f64 v[8:9], v[8:9], v[164:165]
	v_add_f64 v[12:13], v[162:163], -v[160:161]
	v_add_f64 v[14:15], v[172:173], -v[174:175]
	v_add_f64 v[36:37], v[8:9], v[166:167]
	v_add_f64 v[8:9], v[158:159], v[164:165]
	v_add_f64 v[12:13], v[12:13], v[14:15]
	v_fma_f64 v[22:23], -0.5, v[8:9], v[126:127]
	v_add_f64 v[8:9], v[148:149], -v[156:157]
	v_fmac_f64_e32 v[54:55], s[12:13], v[12:13]
	v_fmac_f64_e32 v[42:43], s[12:13], v[12:13]
	v_fma_f64 v[10:11], s[10:11], v[8:9], v[22:23]
	v_add_f64 v[12:13], v[152:153], -v[154:155]
	v_add_f64 v[14:15], v[150:151], -v[158:159]
	v_add_f64 v[16:17], v[166:167], -v[164:165]
	v_fmac_f64_e32 v[22:23], s[16:17], v[8:9]
	v_fmac_f64_e32 v[10:11], s[8:9], v[12:13]
	v_add_f64 v[14:15], v[14:15], v[16:17]
	v_fmac_f64_e32 v[22:23], s[14:15], v[12:13]
	v_fmac_f64_e32 v[10:11], s[12:13], v[14:15]
	v_fmac_f64_e32 v[22:23], s[12:13], v[14:15]
	v_add_f64 v[14:15], v[150:151], v[166:167]
	v_fmac_f64_e32 v[126:127], -0.5, v[14:15]
	v_fma_f64 v[26:27], s[16:17], v[12:13], v[126:127]
	v_fmac_f64_e32 v[126:127], s[10:11], v[12:13]
	v_fmac_f64_e32 v[26:27], s[8:9], v[8:9]
	v_fmac_f64_e32 v[126:127], s[14:15], v[8:9]
	v_add_f64 v[8:9], v[146:147], v[148:149]
	v_add_f64 v[8:9], v[8:9], v[152:153]
	v_add_f64 v[8:9], v[8:9], v[154:155]
	v_add_f64 v[14:15], v[158:159], -v[150:151]
	v_add_f64 v[16:17], v[164:165], -v[166:167]
	v_add_f64 v[160:161], v[8:9], v[156:157]
	v_add_f64 v[8:9], v[152:153], v[154:155]
	v_add_f64 v[14:15], v[14:15], v[16:17]
	v_fma_f64 v[44:45], -0.5, v[8:9], v[146:147]
	v_add_f64 v[8:9], v[150:151], -v[166:167]
	v_fmac_f64_e32 v[26:27], s[12:13], v[14:15]
	v_fmac_f64_e32 v[126:127], s[12:13], v[14:15]
	v_fma_f64 v[14:15], s[16:17], v[8:9], v[44:45]
	v_add_f64 v[12:13], v[158:159], -v[164:165]
	v_add_f64 v[16:17], v[148:149], -v[152:153]
	v_fmac_f64_e32 v[44:45], s[10:11], v[8:9]
	v_fmac_f64_e32 v[14:15], s[14:15], v[12:13]
	v_add_f64 v[16:17], v[16:17], v[18:19]
	v_fmac_f64_e32 v[44:45], s[8:9], v[12:13]
	v_fmac_f64_e32 v[14:15], s[12:13], v[16:17]
	;; [unrolled: 1-line block ×3, first 2 shown]
	v_add_f64 v[16:17], v[148:149], v[156:157]
	v_fmac_f64_e32 v[146:147], -0.5, v[16:17]
	v_fma_f64 v[150:151], s[10:11], v[12:13], v[146:147]
	v_add_f64 v[16:17], v[152:153], -v[148:149]
	v_add_f64 v[18:19], v[154:155], -v[156:157]
	v_fmac_f64_e32 v[146:147], s[16:17], v[12:13]
	v_add_f64 v[16:17], v[16:17], v[18:19]
	v_fmac_f64_e32 v[146:147], s[8:9], v[8:9]
	v_fmac_f64_e32 v[150:151], s[14:15], v[8:9]
	v_fmac_f64_e32 v[146:147], s[12:13], v[16:17]
	v_mul_f64 v[154:155], v[126:127], s[20:21]
	v_fmac_f64_e32 v[150:151], s[12:13], v[16:17]
	v_fmac_f64_e32 v[154:155], s[10:11], v[146:147]
	v_mul_f64 v[146:147], v[146:147], s[20:21]
	v_mul_f64 v[152:153], v[150:151], s[10:11]
	;; [unrolled: 1-line block ×3, first 2 shown]
	v_fmac_f64_e32 v[146:147], s[16:17], v[126:127]
	v_mul_f64 v[126:127], v[44:45], s[18:19]
	v_fmac_f64_e32 v[152:153], s[12:13], v[26:27]
	v_fmac_f64_e32 v[158:159], s[22:23], v[14:15]
	v_fmac_f64_e32 v[126:127], s[14:15], v[22:23]
	v_add_f64 v[16:17], v[28:29], v[36:37]
	v_mul_f64 v[148:149], v[14:15], s[8:9]
	v_add_f64 v[8:9], v[38:39], v[152:153]
	v_mul_f64 v[156:157], v[22:23], s[18:19]
	v_add_f64 v[18:19], v[34:35], v[160:161]
	v_add_f64 v[14:15], v[46:47], v[158:159]
	v_mul_f64 v[162:163], v[26:27], s[16:17]
	v_add_f64 v[26:27], v[42:43], v[146:147]
	v_add_f64 v[22:23], v[50:51], v[126:127]
	v_add_f64 v[36:37], v[28:29], -v[36:37]
	v_add_f64 v[28:29], v[38:39], -v[152:153]
	v_add_f64 v[38:39], v[34:35], -v[160:161]
	v_add_f64 v[34:35], v[46:47], -v[158:159]
	v_add_f64 v[46:47], v[42:43], -v[146:147]
	v_add_f64 v[42:43], v[50:51], -v[126:127]
	v_add_f64 v[50:51], v[4:5], v[124:125]
	v_add_f64 v[50:51], v[50:51], v[78:79]
	;; [unrolled: 1-line block ×5, first 2 shown]
	v_fmac_f64_e32 v[148:149], s[22:23], v[10:11]
	v_fmac_f64_e32 v[156:157], s[8:9], v[44:45]
	;; [unrolled: 1-line block ×3, first 2 shown]
	v_fma_f64 v[146:147], -0.5, v[50:51], v[4:5]
	v_add_f64 v[50:51], v[82:83], -v[58:59]
	v_add_f64 v[12:13], v[32:33], v[148:149]
	v_add_f64 v[24:25], v[40:41], v[154:155]
	v_add_f64 v[20:21], v[30:31], v[156:157]
	v_add_f64 v[10:11], v[54:55], v[162:163]
	v_add_f64 v[32:33], v[32:33], -v[148:149]
	v_add_f64 v[44:45], v[40:41], -v[154:155]
	;; [unrolled: 1-line block ×4, first 2 shown]
	v_fma_f64 v[148:149], s[10:11], v[50:51], v[146:147]
	v_add_f64 v[54:55], v[74:75], -v[66:67]
	v_add_f64 v[150:151], v[124:125], -v[78:79]
	;; [unrolled: 1-line block ×3, first 2 shown]
	v_fmac_f64_e32 v[146:147], s[16:17], v[50:51]
	v_fmac_f64_e32 v[148:149], s[8:9], v[54:55]
	v_add_f64 v[150:151], v[150:151], v[152:153]
	v_fmac_f64_e32 v[146:147], s[14:15], v[54:55]
	v_fmac_f64_e32 v[148:149], s[12:13], v[150:151]
	;; [unrolled: 1-line block ×3, first 2 shown]
	v_add_f64 v[150:151], v[124:125], v[62:63]
	v_fmac_f64_e32 v[4:5], -0.5, v[150:151]
	v_fma_f64 v[154:155], s[16:17], v[54:55], v[4:5]
	v_fmac_f64_e32 v[4:5], s[10:11], v[54:55]
	v_fmac_f64_e32 v[154:155], s[8:9], v[50:51]
	;; [unrolled: 1-line block ×3, first 2 shown]
	v_add_f64 v[50:51], v[6:7], v[82:83]
	v_add_f64 v[150:151], v[78:79], -v[124:125]
	v_add_f64 v[152:153], v[70:71], -v[62:63]
	v_add_f64 v[50:51], v[50:51], v[74:75]
	v_add_f64 v[150:151], v[150:151], v[152:153]
	;; [unrolled: 1-line block ×3, first 2 shown]
	v_fmac_f64_e32 v[154:155], s[12:13], v[150:151]
	v_fmac_f64_e32 v[4:5], s[12:13], v[150:151]
	v_add_f64 v[150:151], v[50:51], v[58:59]
	v_add_f64 v[50:51], v[74:75], v[66:67]
	v_fma_f64 v[152:153], -0.5, v[50:51], v[6:7]
	v_add_f64 v[50:51], v[124:125], -v[62:63]
	v_fma_f64 v[124:125], s[16:17], v[50:51], v[152:153]
	v_add_f64 v[54:55], v[78:79], -v[70:71]
	v_add_f64 v[62:63], v[82:83], -v[74:75]
	;; [unrolled: 1-line block ×3, first 2 shown]
	v_fmac_f64_e32 v[152:153], s[10:11], v[50:51]
	v_fmac_f64_e32 v[124:125], s[14:15], v[54:55]
	v_add_f64 v[62:63], v[62:63], v[70:71]
	v_fmac_f64_e32 v[152:153], s[8:9], v[54:55]
	v_fmac_f64_e32 v[124:125], s[12:13], v[62:63]
	;; [unrolled: 1-line block ×3, first 2 shown]
	v_add_f64 v[62:63], v[82:83], v[58:59]
	v_fmac_f64_e32 v[6:7], -0.5, v[62:63]
	v_fma_f64 v[70:71], s[10:11], v[54:55], v[6:7]
	v_fmac_f64_e32 v[6:7], s[16:17], v[54:55]
	v_fmac_f64_e32 v[70:71], s[14:15], v[50:51]
	;; [unrolled: 1-line block ×3, first 2 shown]
	v_add_f64 v[50:51], v[122:123], v[76:77]
	v_add_f64 v[50:51], v[50:51], v[68:69]
	;; [unrolled: 1-line block ×3, first 2 shown]
	v_add_f64 v[62:63], v[74:75], -v[82:83]
	v_add_f64 v[58:59], v[66:67], -v[58:59]
	v_add_f64 v[74:75], v[50:51], v[52:53]
	v_add_f64 v[50:51], v[68:69], v[60:61]
	;; [unrolled: 1-line block ×3, first 2 shown]
	v_fma_f64 v[62:63], -0.5, v[50:51], v[122:123]
	v_add_f64 v[50:51], v[72:73], -v[48:49]
	v_fmac_f64_e32 v[70:71], s[12:13], v[58:59]
	v_fmac_f64_e32 v[6:7], s[12:13], v[58:59]
	v_fma_f64 v[54:55], s[10:11], v[50:51], v[62:63]
	v_add_f64 v[58:59], v[64:65], -v[56:57]
	v_add_f64 v[66:67], v[76:77], -v[68:69]
	v_add_f64 v[78:79], v[52:53], -v[60:61]
	v_fmac_f64_e32 v[62:63], s[16:17], v[50:51]
	v_fmac_f64_e32 v[54:55], s[8:9], v[58:59]
	v_add_f64 v[66:67], v[66:67], v[78:79]
	v_fmac_f64_e32 v[62:63], s[14:15], v[58:59]
	v_fmac_f64_e32 v[54:55], s[12:13], v[66:67]
	;; [unrolled: 1-line block ×3, first 2 shown]
	v_add_f64 v[66:67], v[76:77], v[52:53]
	v_fmac_f64_e32 v[122:123], -0.5, v[66:67]
	v_fma_f64 v[66:67], s[16:17], v[58:59], v[122:123]
	v_fmac_f64_e32 v[122:123], s[10:11], v[58:59]
	v_fmac_f64_e32 v[66:67], s[8:9], v[50:51]
	;; [unrolled: 1-line block ×3, first 2 shown]
	v_add_f64 v[50:51], v[80:81], v[72:73]
	v_add_f64 v[78:79], v[68:69], -v[76:77]
	v_add_f64 v[82:83], v[60:61], -v[52:53]
	v_add_f64 v[50:51], v[50:51], v[64:65]
	v_add_f64 v[78:79], v[78:79], v[82:83]
	;; [unrolled: 1-line block ×3, first 2 shown]
	v_fmac_f64_e32 v[66:67], s[12:13], v[78:79]
	v_fmac_f64_e32 v[122:123], s[12:13], v[78:79]
	v_add_f64 v[78:79], v[50:51], v[48:49]
	v_add_f64 v[50:51], v[64:65], v[56:57]
	v_fma_f64 v[82:83], -0.5, v[50:51], v[80:81]
	v_add_f64 v[50:51], v[76:77], -v[52:53]
	v_fma_f64 v[76:77], s[16:17], v[50:51], v[82:83]
	v_add_f64 v[52:53], v[68:69], -v[60:61]
	v_add_f64 v[58:59], v[72:73], -v[64:65]
	;; [unrolled: 1-line block ×3, first 2 shown]
	v_fmac_f64_e32 v[82:83], s[10:11], v[50:51]
	v_fmac_f64_e32 v[76:77], s[14:15], v[52:53]
	v_add_f64 v[58:59], v[58:59], v[60:61]
	v_fmac_f64_e32 v[82:83], s[8:9], v[52:53]
	v_fmac_f64_e32 v[76:77], s[12:13], v[58:59]
	;; [unrolled: 1-line block ×3, first 2 shown]
	v_add_f64 v[58:59], v[72:73], v[48:49]
	v_fmac_f64_e32 v[80:81], -0.5, v[58:59]
	v_fma_f64 v[68:69], s[10:11], v[52:53], v[80:81]
	v_add_f64 v[58:59], v[64:65], -v[72:73]
	v_add_f64 v[48:49], v[56:57], -v[48:49]
	v_fmac_f64_e32 v[80:81], s[16:17], v[52:53]
	v_add_f64 v[48:49], v[58:59], v[48:49]
	v_fmac_f64_e32 v[80:81], s[8:9], v[50:51]
	v_fmac_f64_e32 v[80:81], s[12:13], v[48:49]
	;; [unrolled: 1-line block ×3, first 2 shown]
	v_mul_f64 v[166:167], v[80:81], s[20:21]
	v_fmac_f64_e32 v[68:69], s[12:13], v[48:49]
	v_mul_f64 v[158:159], v[122:123], s[20:21]
	v_fmac_f64_e32 v[166:167], s[16:17], v[122:123]
	v_mul_f64 v[122:123], v[82:83], s[18:19]
	v_mul_f64 v[156:157], v[68:69], s[10:11]
	;; [unrolled: 1-line block ×3, first 2 shown]
	v_fmac_f64_e32 v[122:123], s[14:15], v[62:63]
	v_fmac_f64_e32 v[156:157], s[12:13], v[66:67]
	;; [unrolled: 1-line block ×3, first 2 shown]
	v_mul_f64 v[164:165], v[66:67], s[16:17]
	v_add_f64 v[66:67], v[6:7], v[166:167]
	v_add_f64 v[62:63], v[152:153], v[122:123]
	v_add_f64 v[82:83], v[6:7], -v[166:167]
	v_add_f64 v[6:7], v[152:153], -v[122:123]
	v_add_f64 v[122:123], v[0:1], v[112:113]
	v_add_f64 v[122:123], v[122:123], v[114:115]
	v_mul_f64 v[162:163], v[54:55], s[14:15]
	v_add_f64 v[122:123], v[122:123], v[116:117]
	v_add_f64 v[56:57], v[126:127], v[74:75]
	v_mul_f64 v[72:73], v[76:77], s[8:9]
	v_fmac_f64_e32 v[158:159], s[10:11], v[80:81]
	v_fmac_f64_e32 v[162:163], s[22:23], v[76:77]
	v_add_f64 v[76:77], v[126:127], -v[74:75]
	v_add_f64 v[126:127], v[122:123], v[118:119]
	v_add_f64 v[122:123], v[114:115], v[116:117]
	v_fmac_f64_e32 v[72:73], s[22:23], v[54:55]
	v_add_f64 v[64:65], v[4:5], v[158:159]
	v_add_f64 v[60:61], v[146:147], v[160:161]
	v_add_f64 v[80:81], v[4:5], -v[158:159]
	v_add_f64 v[4:5], v[146:147], -v[160:161]
	v_fma_f64 v[146:147], -0.5, v[122:123], v[0:1]
	v_add_f64 v[122:123], v[104:105], -v[110:111]
	v_add_f64 v[52:53], v[148:149], v[72:73]
	v_add_f64 v[58:59], v[150:151], v[78:79]
	;; [unrolled: 1-line block ×3, first 2 shown]
	v_add_f64 v[72:73], v[148:149], -v[72:73]
	v_add_f64 v[78:79], v[150:151], -v[78:79]
	;; [unrolled: 1-line block ×3, first 2 shown]
	v_fma_f64 v[148:149], s[10:11], v[122:123], v[146:147]
	v_add_f64 v[124:125], v[106:107], -v[108:109]
	v_add_f64 v[150:151], v[112:113], -v[114:115]
	;; [unrolled: 1-line block ×3, first 2 shown]
	v_fmac_f64_e32 v[146:147], s[16:17], v[122:123]
	v_fmac_f64_e32 v[148:149], s[8:9], v[124:125]
	v_add_f64 v[150:151], v[150:151], v[152:153]
	v_fmac_f64_e32 v[146:147], s[14:15], v[124:125]
	v_fmac_f64_e32 v[148:149], s[12:13], v[150:151]
	;; [unrolled: 1-line block ×3, first 2 shown]
	v_add_f64 v[150:151], v[112:113], v[118:119]
	v_fmac_f64_e32 v[0:1], -0.5, v[150:151]
	v_fma_f64 v[152:153], s[16:17], v[124:125], v[0:1]
	v_fmac_f64_e32 v[0:1], s[10:11], v[124:125]
	v_fmac_f64_e32 v[152:153], s[8:9], v[122:123]
	;; [unrolled: 1-line block ×3, first 2 shown]
	v_add_f64 v[122:123], v[2:3], v[104:105]
	v_add_f64 v[48:49], v[154:155], v[156:157]
	v_fmac_f64_e32 v[164:165], s[12:13], v[68:69]
	v_add_f64 v[68:69], v[154:155], -v[156:157]
	v_add_f64 v[150:151], v[114:115], -v[112:113]
	;; [unrolled: 1-line block ×3, first 2 shown]
	v_add_f64 v[122:123], v[122:123], v[106:107]
	v_add_f64 v[150:151], v[150:151], v[154:155]
	;; [unrolled: 1-line block ×3, first 2 shown]
	v_fmac_f64_e32 v[152:153], s[12:13], v[150:151]
	v_fmac_f64_e32 v[0:1], s[12:13], v[150:151]
	v_add_f64 v[150:151], v[122:123], v[110:111]
	v_add_f64 v[122:123], v[106:107], v[108:109]
	v_fma_f64 v[122:123], -0.5, v[122:123], v[2:3]
	v_add_f64 v[112:113], v[112:113], -v[118:119]
	v_fma_f64 v[118:119], s[16:17], v[112:113], v[122:123]
	v_add_f64 v[114:115], v[114:115], -v[116:117]
	v_add_f64 v[116:117], v[104:105], -v[106:107]
	;; [unrolled: 1-line block ×3, first 2 shown]
	v_fmac_f64_e32 v[122:123], s[10:11], v[112:113]
	v_fmac_f64_e32 v[118:119], s[14:15], v[114:115]
	v_add_f64 v[116:117], v[116:117], v[124:125]
	v_fmac_f64_e32 v[122:123], s[8:9], v[114:115]
	v_fmac_f64_e32 v[118:119], s[12:13], v[116:117]
	;; [unrolled: 1-line block ×3, first 2 shown]
	v_add_f64 v[116:117], v[104:105], v[110:111]
	v_add_f64 v[104:105], v[106:107], -v[104:105]
	v_add_f64 v[106:107], v[108:109], -v[110:111]
	v_fmac_f64_e32 v[2:3], -0.5, v[116:117]
	v_add_f64 v[104:105], v[104:105], v[106:107]
	v_add_f64 v[106:107], v[94:95], v[96:97]
	v_fma_f64 v[154:155], s[10:11], v[114:115], v[2:3]
	v_fmac_f64_e32 v[2:3], s[16:17], v[114:115]
	v_fma_f64 v[106:107], -0.5, v[106:107], v[98:99]
	v_add_f64 v[108:109], v[84:85], -v[90:91]
	v_fmac_f64_e32 v[154:155], s[14:15], v[112:113]
	v_fmac_f64_e32 v[2:3], s[8:9], v[112:113]
	v_fma_f64 v[112:113], s[10:11], v[108:109], v[106:107]
	v_add_f64 v[110:111], v[86:87], -v[88:89]
	v_add_f64 v[114:115], v[92:93], -v[94:95]
	v_add_f64 v[116:117], v[100:101], -v[96:97]
	v_fmac_f64_e32 v[106:107], s[16:17], v[108:109]
	v_fmac_f64_e32 v[112:113], s[8:9], v[110:111]
	v_add_f64 v[114:115], v[114:115], v[116:117]
	v_fmac_f64_e32 v[106:107], s[14:15], v[110:111]
	v_fmac_f64_e32 v[112:113], s[12:13], v[114:115]
	v_fmac_f64_e32 v[106:107], s[12:13], v[114:115]
	v_add_f64 v[114:115], v[92:93], v[100:101]
	v_fmac_f64_e32 v[154:155], s[12:13], v[104:105]
	v_fmac_f64_e32 v[2:3], s[12:13], v[104:105]
	v_add_f64 v[104:105], v[98:99], v[92:93]
	v_fmac_f64_e32 v[98:99], -0.5, v[114:115]
	v_fma_f64 v[114:115], s[16:17], v[110:111], v[98:99]
	v_fmac_f64_e32 v[98:99], s[10:11], v[110:111]
	v_fmac_f64_e32 v[114:115], s[8:9], v[108:109]
	;; [unrolled: 1-line block ×3, first 2 shown]
	v_add_f64 v[108:109], v[102:103], v[84:85]
	v_add_f64 v[108:109], v[108:109], v[86:87]
	;; [unrolled: 1-line block ×4, first 2 shown]
	v_add_f64 v[116:117], v[94:95], -v[92:93]
	v_add_f64 v[124:125], v[96:97], -v[100:101]
	v_add_f64 v[110:111], v[108:109], v[90:91]
	v_add_f64 v[108:109], v[86:87], v[88:89]
	;; [unrolled: 1-line block ×4, first 2 shown]
	v_fma_f64 v[108:109], -0.5, v[108:109], v[102:103]
	v_add_f64 v[92:93], v[92:93], -v[100:101]
	v_add_f64 v[104:105], v[104:105], v[100:101]
	v_fmac_f64_e32 v[114:115], s[12:13], v[116:117]
	v_fmac_f64_e32 v[98:99], s[12:13], v[116:117]
	v_fma_f64 v[116:117], s[16:17], v[92:93], v[108:109]
	v_add_f64 v[94:95], v[94:95], -v[96:97]
	v_add_f64 v[96:97], v[84:85], -v[86:87]
	;; [unrolled: 1-line block ×3, first 2 shown]
	v_fmac_f64_e32 v[108:109], s[10:11], v[92:93]
	v_fmac_f64_e32 v[116:117], s[14:15], v[94:95]
	v_add_f64 v[96:97], v[96:97], v[100:101]
	v_fmac_f64_e32 v[108:109], s[8:9], v[94:95]
	v_fmac_f64_e32 v[116:117], s[12:13], v[96:97]
	;; [unrolled: 1-line block ×3, first 2 shown]
	v_add_f64 v[96:97], v[84:85], v[90:91]
	v_fmac_f64_e32 v[102:103], -0.5, v[96:97]
	v_fma_f64 v[124:125], s[10:11], v[94:95], v[102:103]
	v_add_f64 v[84:85], v[86:87], -v[84:85]
	v_add_f64 v[86:87], v[88:89], -v[90:91]
	v_fmac_f64_e32 v[102:103], s[16:17], v[94:95]
	v_fmac_f64_e32 v[124:125], s[14:15], v[92:93]
	v_add_f64 v[84:85], v[84:85], v[86:87]
	v_fmac_f64_e32 v[102:103], s[8:9], v[92:93]
	v_fmac_f64_e32 v[124:125], s[12:13], v[84:85]
	;; [unrolled: 1-line block ×3, first 2 shown]
	v_mul_f64 v[166:167], v[114:115], s[16:17]
	v_add_f64 v[50:51], v[70:71], v[164:165]
	v_add_f64 v[70:71], v[70:71], -v[164:165]
	v_mul_f64 v[158:159], v[124:125], s[10:11]
	v_mul_f64 v[164:165], v[112:113], s[14:15]
	v_fmac_f64_e32 v[166:167], s[12:13], v[124:125]
	v_mul_f64 v[168:169], v[102:103], s[20:21]
	v_mul_f64 v[124:125], v[108:109], s[18:19]
	;; [unrolled: 1-line block ×3, first 2 shown]
	v_fmac_f64_e32 v[164:165], s[22:23], v[116:117]
	v_fmac_f64_e32 v[168:169], s[16:17], v[98:99]
	;; [unrolled: 1-line block ×5, first 2 shown]
	v_add_f64 v[94:95], v[150:151], v[110:111]
	v_add_f64 v[90:91], v[118:119], v[164:165]
	;; [unrolled: 1-line block ×4, first 2 shown]
	v_add_f64 v[114:115], v[150:151], -v[110:111]
	v_add_f64 v[110:111], v[118:119], -v[164:165]
	;; [unrolled: 1-line block ×4, first 2 shown]
	v_mul_u32_u24_e32 v122, 30, v132
	v_add_lshl_u32 v133, v122, v133, 4
	v_mul_lo_u16_sdwa v122, v130, s25 dst_sel:DWORD dst_unused:UNUSED_PAD src0_sel:BYTE_0 src1_sel:DWORD
	v_lshrrev_b16_e32 v132, 12, v122
	ds_write_b128 v133, v[16:19]
	ds_write_b128 v133, v[12:15] offset:48
	ds_write_b128 v133, v[8:11] offset:96
	;; [unrolled: 1-line block ×9, first 2 shown]
	v_mul_u32_u24_e32 v8, 30, v134
	v_mul_lo_u16_e32 v122, 30, v132
	v_mul_f64 v[156:157], v[116:117], s[8:9]
	v_mul_f64 v[162:163], v[106:107], s[18:19]
	v_add_lshl_u32 v135, v8, v135, 4
	v_sub_u16_e32 v122, v130, v122
	v_fmac_f64_e32 v[156:157], s[22:23], v[112:113]
	v_fmac_f64_e32 v[162:163], s[8:9], v[108:109]
	ds_write_b128 v135, v[56:59]
	ds_write_b128 v135, v[52:55] offset:48
	ds_write_b128 v135, v[48:51] offset:96
	;; [unrolled: 1-line block ×9, first 2 shown]
	v_mad_legacy_u16 v4, v137, 30, v139
	v_and_b32_e32 v137, 0xff, v122
	v_add_f64 v[92:93], v[126:127], v[104:105]
	v_add_f64 v[88:89], v[148:149], v[156:157]
	;; [unrolled: 1-line block ×6, first 2 shown]
	v_add_f64 v[112:113], v[126:127], -v[104:105]
	v_add_f64 v[108:109], v[148:149], -v[156:157]
	;; [unrolled: 1-line block ×6, first 2 shown]
	v_lshlrev_b32_e32 v134, 4, v4
	v_mad_u64_u32 v[122:123], s[30:31], v137, s24, v[120:121]
	ds_write_b128 v134, v[92:95]
	ds_write_b128 v134, v[88:91] offset:48
	ds_write_b128 v134, v[84:87] offset:96
	;; [unrolled: 1-line block ×9, first 2 shown]
	s_waitcnt lgkmcnt(0)
	s_barrier
	ds_read_b128 v[40:43], v232
	ds_read_b128 v[116:119], v232 offset:4320
	ds_read_b128 v[112:115], v232 offset:8640
	;; [unrolled: 1-line block ×29, first 2 shown]
	global_load_dwordx4 v[150:153], v[122:123], off offset:480
	global_load_dwordx4 v[146:149], v[122:123], off offset:464
	;; [unrolled: 1-line block ×4, first 2 shown]
	s_movk_i32 s30, 0xffe2
	s_mov_b32 s31, -1
	s_waitcnt vmcnt(3) lgkmcnt(14)
	v_mul_f64 v[164:165], v[104:105], v[152:153]
	v_accvgpr_write_b32 a163, v153
	s_waitcnt vmcnt(1)
	v_mul_f64 v[162:163], v[112:113], v[156:157]
	s_waitcnt vmcnt(0)
	v_mul_f64 v[124:125], v[118:119], v[160:161]
	v_fma_f64 v[124:125], v[116:117], v[158:159], -v[124:125]
	v_mul_f64 v[126:127], v[116:117], v[160:161]
	v_mul_f64 v[116:117], v[114:115], v[156:157]
	v_fma_f64 v[166:167], v[112:113], v[154:155], -v[116:117]
	v_fmac_f64_e32 v[162:163], v[114:115], v[154:155]
	v_mov_b64_e32 v[114:115], v[146:147]
	v_mov_b64_e32 v[116:117], v[148:149]
	v_mul_f64 v[112:113], v[110:111], v[116:117]
	v_fma_f64 v[148:149], v[108:109], v[114:115], -v[112:113]
	v_mul_f64 v[146:147], v[108:109], v[116:117]
	v_accvgpr_write_b32 a253, v117
	v_mul_f64 v[108:109], v[106:107], v[152:153]
	v_fmac_f64_e32 v[146:147], v[110:111], v[114:115]
	v_accvgpr_write_b32 a252, v116
	v_accvgpr_write_b32 a251, v115
	;; [unrolled: 1-line block ×3, first 2 shown]
	v_fma_f64 v[168:169], v[104:105], v[150:151], -v[108:109]
	v_fmac_f64_e32 v[164:165], v[106:107], v[150:151]
	v_accvgpr_write_b32 a162, v152
	v_accvgpr_write_b32 a161, v151
	;; [unrolled: 1-line block ×3, first 2 shown]
	global_load_dwordx4 v[106:109], v[122:123], off offset:544
	global_load_dwordx4 v[110:113], v[122:123], off offset:528
	;; [unrolled: 1-line block ×4, first 2 shown]
	v_accvgpr_write_b32 a249, v157
	v_accvgpr_write_b32 a248, v156
	;; [unrolled: 1-line block ×5, first 2 shown]
	v_fmac_f64_e32 v[126:127], v[118:119], v[158:159]
	v_accvgpr_write_b32 a244, v160
	v_accvgpr_write_b32 a243, v159
	v_accvgpr_write_b32 a242, v158
	s_waitcnt vmcnt(3)
	v_mul_f64 v[172:173], v[88:89], v[108:109]
	v_fmac_f64_e32 v[172:173], v[90:91], v[106:107]
	s_waitcnt vmcnt(1)
	v_mul_f64 v[170:171], v[96:97], v[116:117]
	s_waitcnt vmcnt(0)
	v_mul_f64 v[104:105], v[102:103], v[152:153]
	v_mov_b64_e32 v[154:155], v[152:153]
	v_fma_f64 v[156:157], v[100:101], v[150:151], -v[104:105]
	v_mov_b64_e32 v[152:153], v[150:151]
	v_mul_f64 v[150:151], v[100:101], v[154:155]
	v_mul_f64 v[100:101], v[98:99], v[116:117]
	v_accvgpr_write_b32 a128, v152
	v_fma_f64 v[174:175], v[96:97], v[114:115], -v[100:101]
	v_mul_f64 v[96:97], v[94:95], v[112:113]
	v_fmac_f64_e32 v[150:151], v[102:103], v[152:153]
	v_accvgpr_write_b32 a129, v153
	v_accvgpr_write_b32 a130, v154
	;; [unrolled: 1-line block ×3, first 2 shown]
	v_fma_f64 v[158:159], v[92:93], v[110:111], -v[96:97]
	v_mul_f64 v[152:153], v[92:93], v[112:113]
	v_mul_f64 v[92:93], v[90:91], v[108:109]
	v_fma_f64 v[176:177], v[88:89], v[106:107], -v[92:93]
	global_load_dwordx4 v[90:93], v[122:123], off offset:560
	v_fmac_f64_e32 v[170:171], v[98:99], v[114:115]
	v_fmac_f64_e32 v[152:153], v[94:95], v[110:111]
	v_accvgpr_write_b32 a84, v106
	v_accvgpr_write_b32 a85, v107
	;; [unrolled: 1-line block ×12, first 2 shown]
	s_waitcnt vmcnt(0)
	v_mul_f64 v[88:89], v[86:87], v[92:93]
	v_fma_f64 v[160:161], v[84:85], v[90:91], -v[88:89]
	v_mul_f64 v[154:155], v[84:85], v[92:93]
	v_mul_lo_u16_sdwa v84, v142, s25 dst_sel:DWORD dst_unused:UNUSED_PAD src0_sel:BYTE_0 src1_sel:DWORD
	v_lshrrev_b16_e32 v139, 12, v84
	v_mul_lo_u16_e32 v84, 30, v139
	v_sub_u16_e32 v84, v142, v84
	v_and_b32_e32 v143, 0xff, v84
	v_accvgpr_write_b32 a103, v93
	v_mad_u64_u32 v[84:85], s[24:25], v143, s24, v[120:121]
	v_fmac_f64_e32 v[154:155], v[86:87], v[90:91]
	v_accvgpr_write_b32 a102, v92
	v_accvgpr_write_b32 a101, v91
	;; [unrolled: 1-line block ×3, first 2 shown]
	global_load_dwordx4 v[88:91], v[84:85], off offset:480
	global_load_dwordx4 v[92:95], v[84:85], off offset:464
	;; [unrolled: 1-line block ×4, first 2 shown]
	s_mov_b32 s24, 0x8889
	s_waitcnt vmcnt(3)
	v_accvgpr_write_b32 a88, v88
	s_waitcnt vmcnt(2)
	v_accvgpr_write_b32 a76, v92
	;; [unrolled: 2-line block ×3, first 2 shown]
	s_waitcnt vmcnt(0)
	v_mul_f64 v[86:87], v[82:83], v[198:199]
	v_fma_f64 v[120:121], v[80:81], v[196:197], -v[86:87]
	v_mul_f64 v[80:81], v[80:81], v[198:199]
	v_fmac_f64_e32 v[80:81], v[82:83], v[196:197]
	v_mul_f64 v[82:83], v[78:79], v[98:99]
	v_fma_f64 v[122:123], v[76:77], v[96:97], -v[82:83]
	v_mul_f64 v[82:83], v[76:77], v[98:99]
	v_mul_f64 v[76:77], v[74:75], v[94:95]
	v_fma_f64 v[76:77], v[72:73], v[92:93], -v[76:77]
	v_mul_f64 v[72:73], v[72:73], v[94:95]
	v_fmac_f64_e32 v[72:73], v[74:75], v[92:93]
	v_mul_f64 v[74:75], v[70:71], v[90:91]
	v_fmac_f64_e32 v[82:83], v[78:79], v[96:97]
	v_fma_f64 v[78:79], v[68:69], v[88:89], -v[74:75]
	v_mul_f64 v[74:75], v[68:69], v[90:91]
	v_accvgpr_write_b32 a73, v97
	v_accvgpr_write_b32 a74, v98
	;; [unrolled: 1-line block ×6, first 2 shown]
	v_fmac_f64_e32 v[74:75], v[70:71], v[88:89]
	v_accvgpr_write_b32 a89, v89
	v_accvgpr_write_b32 a90, v90
	;; [unrolled: 1-line block ×3, first 2 shown]
	global_load_dwordx4 v[86:89], v[84:85], off offset:544
	global_load_dwordx4 v[90:93], v[84:85], off offset:528
	global_load_dwordx4 v[94:97], v[84:85], off offset:512
	global_load_dwordx4 v[98:101], v[84:85], off offset:496
	s_waitcnt vmcnt(3)
	v_accvgpr_write_b32 a147, v89
	v_accvgpr_write_b32 a146, v88
	;; [unrolled: 1-line block ×3, first 2 shown]
	s_waitcnt vmcnt(0)
	v_mul_f64 v[68:69], v[66:67], v[100:101]
	v_fma_f64 v[68:69], v[64:65], v[98:99], -v[68:69]
	v_mul_f64 v[64:65], v[64:65], v[100:101]
	v_fmac_f64_e32 v[64:65], v[66:67], v[98:99]
	s_waitcnt lgkmcnt(13)
	v_mul_f64 v[66:67], v[62:63], v[96:97]
	v_fma_f64 v[70:71], v[60:61], v[94:95], -v[66:67]
	v_mul_f64 v[66:67], v[60:61], v[96:97]
	s_waitcnt lgkmcnt(12)
	v_mul_f64 v[60:61], v[58:59], v[92:93]
	v_fma_f64 v[60:61], v[56:57], v[90:91], -v[60:61]
	v_mul_f64 v[56:57], v[56:57], v[92:93]
	v_fmac_f64_e32 v[56:57], v[58:59], v[90:91]
	s_waitcnt lgkmcnt(11)
	v_mul_f64 v[58:59], v[54:55], v[88:89]
	v_fmac_f64_e32 v[66:67], v[62:63], v[94:95]
	v_fma_f64 v[62:63], v[52:53], v[86:87], -v[58:59]
	v_mul_f64 v[58:59], v[52:53], v[88:89]
	v_fmac_f64_e32 v[58:59], v[54:55], v[86:87]
	v_accvgpr_write_b32 a144, v86
	global_load_dwordx4 v[84:87], v[84:85], off offset:560
	v_accvgpr_write_b32 a107, v97
	v_accvgpr_write_b32 a119, v93
	;; [unrolled: 1-line block ×12, first 2 shown]
	s_waitcnt vmcnt(0) lgkmcnt(10)
	v_mul_f64 v[52:53], v[50:51], v[86:87]
	v_fma_f64 v[52:53], v[48:49], v[84:85], -v[52:53]
	v_mul_f64 v[48:49], v[48:49], v[86:87]
	v_fmac_f64_e32 v[48:49], v[50:51], v[84:85]
	v_mul_u32_u24_sdwa v50, v144, s24 dst_sel:DWORD dst_unused:UNUSED_PAD src0_sel:WORD_0 src1_sel:DWORD
	v_lshrrev_b32_e32 v141, 20, v50
	v_mul_lo_u16_e32 v50, 30, v141
	v_sub_u16_e32 v145, v144, v50
	v_mul_lo_u16_e32 v50, 0x90, v145
	v_mov_b32_e32 v51, v233
	v_accvgpr_write_b32 a155, v87
	v_lshl_add_u64 v[50:51], s[6:7], 0, v[50:51]
	v_accvgpr_write_b32 a154, v86
	v_accvgpr_write_b32 a153, v85
	;; [unrolled: 1-line block ×3, first 2 shown]
	global_load_dwordx4 v[86:89], v[50:51], off offset:480
	global_load_dwordx4 v[90:93], v[50:51], off offset:464
	;; [unrolled: 1-line block ×4, first 2 shown]
	s_movk_i32 s24, 0x12c
	s_waitcnt vmcnt(3)
	v_accvgpr_write_b32 a135, v89
	v_accvgpr_write_b32 a134, v88
	;; [unrolled: 1-line block ×3, first 2 shown]
	s_waitcnt vmcnt(0) lgkmcnt(8)
	v_mul_f64 v[54:55], v[46:47], v[106:107]
	v_fma_f64 v[98:99], v[44:45], v[104:105], -v[54:55]
	v_mul_f64 v[102:103], v[44:45], v[106:107]
	s_waitcnt lgkmcnt(7)
	v_mul_f64 v[44:45], v[38:39], v[96:97]
	v_fmac_f64_e32 v[102:103], v[46:47], v[104:105]
	v_fma_f64 v[112:113], v[36:37], v[94:95], -v[44:45]
	v_mov_b64_e32 v[44:45], v[90:91]
	v_accvgpr_write_b32 a96, v104
	v_mov_b64_e32 v[46:47], v[92:93]
	v_accvgpr_write_b32 a97, v105
	v_accvgpr_write_b32 a98, v106
	;; [unrolled: 1-line block ×3, first 2 shown]
	v_mul_f64 v[104:105], v[36:37], v[96:97]
	s_waitcnt lgkmcnt(6)
	v_mul_f64 v[36:37], v[34:35], v[46:47]
	v_fma_f64 v[92:93], v[32:33], v[44:45], -v[36:37]
	v_mul_f64 v[84:85], v[32:33], v[46:47]
	v_accvgpr_write_b32 a123, v47
	s_waitcnt lgkmcnt(5)
	v_mul_f64 v[32:33], v[30:31], v[88:89]
	v_mul_f64 v[106:107], v[28:29], v[88:89]
	v_fmac_f64_e32 v[84:85], v[34:35], v[44:45]
	v_accvgpr_write_b32 a122, v46
	v_accvgpr_write_b32 a121, v45
	;; [unrolled: 1-line block ×3, first 2 shown]
	v_fma_f64 v[114:115], v[28:29], v[86:87], -v[32:33]
	v_fmac_f64_e32 v[106:107], v[30:31], v[86:87]
	v_accvgpr_write_b32 a132, v86
	global_load_dwordx4 v[30:33], v[50:51], off offset:544
	global_load_dwordx4 v[34:37], v[50:51], off offset:528
	global_load_dwordx4 v[44:47], v[50:51], off offset:512
	global_load_dwordx4 v[88:91], v[50:51], off offset:496
	v_accvgpr_write_b32 a115, v97
	v_fmac_f64_e32 v[104:105], v[38:39], v[94:95]
	v_accvgpr_write_b32 a114, v96
	v_accvgpr_write_b32 a113, v95
	;; [unrolled: 1-line block ×3, first 2 shown]
	s_waitcnt vmcnt(3) lgkmcnt(1)
	v_mul_f64 v[110:111], v[8:9], v[32:33]
	v_fmac_f64_e32 v[110:111], v[10:11], v[30:31]
	s_waitcnt vmcnt(1)
	v_mul_f64 v[108:109], v[20:21], v[46:47]
	s_waitcnt vmcnt(0)
	v_mul_f64 v[28:29], v[26:27], v[90:91]
	v_fma_f64 v[94:95], v[24:25], v[88:89], -v[28:29]
	v_mul_f64 v[86:87], v[24:25], v[90:91]
	v_mul_f64 v[24:25], v[22:23], v[46:47]
	v_accvgpr_write_b32 a127, v91
	v_fma_f64 v[116:117], v[20:21], v[44:45], -v[24:25]
	v_mul_f64 v[20:21], v[14:15], v[36:37]
	v_fmac_f64_e32 v[86:87], v[26:27], v[88:89]
	v_accvgpr_write_b32 a126, v90
	v_accvgpr_write_b32 a125, v89
	;; [unrolled: 1-line block ×3, first 2 shown]
	v_fma_f64 v[96:97], v[12:13], v[34:35], -v[20:21]
	v_mul_f64 v[88:89], v[12:13], v[36:37]
	v_mul_f64 v[12:13], v[10:11], v[32:33]
	v_fma_f64 v[118:119], v[8:9], v[30:31], -v[12:13]
	global_load_dwordx4 v[10:13], v[50:51], off offset:560
	v_accvgpr_write_b32 a151, v33
	v_accvgpr_write_b32 a150, v32
	;; [unrolled: 1-line block ×5, first 2 shown]
	v_fmac_f64_e32 v[88:89], v[14:15], v[34:35]
	v_accvgpr_write_b32 a142, v36
	v_accvgpr_write_b32 a141, v35
	;; [unrolled: 1-line block ×7, first 2 shown]
	v_fmac_f64_e32 v[108:109], v[22:23], v[44:45]
	v_add_f64 v[14:15], v[154:155], -v[152:153]
	s_waitcnt lgkmcnt(0)
	s_barrier
	s_waitcnt vmcnt(0)
	v_mul_f64 v[8:9], v[6:7], v[12:13]
	v_fma_f64 v[100:101], v[4:5], v[10:11], -v[8:9]
	v_mul_f64 v[90:91], v[4:5], v[12:13]
	v_add_f64 v[4:5], v[40:41], v[166:167]
	v_add_f64 v[4:5], v[4:5], v[168:169]
	;; [unrolled: 1-line block ×5, first 2 shown]
	v_accvgpr_write_b32 a159, v13
	v_fma_f64 v[30:31], -0.5, v[4:5], v[40:41]
	v_add_f64 v[4:5], v[162:163], -v[172:173]
	v_fmac_f64_e32 v[90:91], v[6:7], v[10:11]
	v_accvgpr_write_b32 a158, v12
	v_accvgpr_write_b32 a157, v11
	;; [unrolled: 1-line block ×3, first 2 shown]
	v_fma_f64 v[32:33], s[10:11], v[4:5], v[30:31]
	v_add_f64 v[6:7], v[164:165], -v[170:171]
	v_add_f64 v[8:9], v[166:167], -v[168:169]
	v_add_f64 v[10:11], v[176:177], -v[174:175]
	v_fmac_f64_e32 v[30:31], s[16:17], v[4:5]
	v_fmac_f64_e32 v[32:33], s[8:9], v[6:7]
	v_add_f64 v[8:9], v[8:9], v[10:11]
	v_fmac_f64_e32 v[30:31], s[14:15], v[6:7]
	v_fmac_f64_e32 v[32:33], s[12:13], v[8:9]
	v_fmac_f64_e32 v[30:31], s[12:13], v[8:9]
	v_add_f64 v[8:9], v[166:167], v[176:177]
	v_fmac_f64_e32 v[40:41], -0.5, v[8:9]
	v_fma_f64 v[38:39], s[16:17], v[6:7], v[40:41]
	v_fmac_f64_e32 v[40:41], s[10:11], v[6:7]
	v_fmac_f64_e32 v[38:39], s[8:9], v[4:5]
	v_fmac_f64_e32 v[40:41], s[14:15], v[4:5]
	v_add_f64 v[4:5], v[42:43], v[162:163]
	v_add_f64 v[4:5], v[4:5], v[164:165]
	v_add_f64 v[4:5], v[4:5], v[170:171]
	v_add_f64 v[8:9], v[168:169], -v[166:167]
	v_add_f64 v[10:11], v[174:175], -v[176:177]
	v_add_f64 v[34:35], v[4:5], v[172:173]
	v_add_f64 v[4:5], v[164:165], v[170:171]
	v_add_f64 v[8:9], v[8:9], v[10:11]
	v_fma_f64 v[50:51], -0.5, v[4:5], v[42:43]
	v_add_f64 v[4:5], v[166:167], -v[176:177]
	v_fmac_f64_e32 v[38:39], s[12:13], v[8:9]
	v_fmac_f64_e32 v[40:41], s[12:13], v[8:9]
	v_fma_f64 v[46:47], s[16:17], v[4:5], v[50:51]
	v_add_f64 v[6:7], v[168:169], -v[174:175]
	v_add_f64 v[8:9], v[162:163], -v[164:165]
	v_add_f64 v[10:11], v[172:173], -v[170:171]
	v_fmac_f64_e32 v[50:51], s[10:11], v[4:5]
	v_fmac_f64_e32 v[46:47], s[14:15], v[6:7]
	v_add_f64 v[8:9], v[8:9], v[10:11]
	v_fmac_f64_e32 v[50:51], s[8:9], v[6:7]
	v_fmac_f64_e32 v[46:47], s[12:13], v[8:9]
	v_fmac_f64_e32 v[50:51], s[12:13], v[8:9]
	v_add_f64 v[8:9], v[162:163], v[172:173]
	v_fmac_f64_e32 v[42:43], -0.5, v[8:9]
	v_fma_f64 v[54:55], s[10:11], v[6:7], v[42:43]
	v_fmac_f64_e32 v[42:43], s[16:17], v[6:7]
	v_fmac_f64_e32 v[54:55], s[14:15], v[4:5]
	v_fmac_f64_e32 v[42:43], s[8:9], v[4:5]
	v_add_f64 v[4:5], v[124:125], v[148:149]
	v_add_f64 v[4:5], v[4:5], v[156:157]
	v_add_f64 v[4:5], v[4:5], v[158:159]
	v_add_f64 v[8:9], v[164:165], -v[162:163]
	v_add_f64 v[10:11], v[170:171], -v[172:173]
	v_add_f64 v[36:37], v[4:5], v[160:161]
	v_add_f64 v[4:5], v[156:157], v[158:159]
	v_add_f64 v[8:9], v[8:9], v[10:11]
	v_fma_f64 v[22:23], -0.5, v[4:5], v[124:125]
	v_add_f64 v[4:5], v[146:147], -v[154:155]
	v_fmac_f64_e32 v[54:55], s[12:13], v[8:9]
	v_fmac_f64_e32 v[42:43], s[12:13], v[8:9]
	;; [unrolled: 28-line block ×3, first 2 shown]
	v_fma_f64 v[10:11], s[16:17], v[4:5], v[44:45]
	v_add_f64 v[8:9], v[156:157], -v[158:159]
	v_add_f64 v[12:13], v[146:147], -v[150:151]
	v_fmac_f64_e32 v[44:45], s[10:11], v[4:5]
	v_fmac_f64_e32 v[10:11], s[14:15], v[8:9]
	v_add_f64 v[12:13], v[12:13], v[14:15]
	v_fmac_f64_e32 v[44:45], s[8:9], v[8:9]
	v_fmac_f64_e32 v[10:11], s[12:13], v[12:13]
	;; [unrolled: 1-line block ×3, first 2 shown]
	v_add_f64 v[12:13], v[146:147], v[154:155]
	v_fmac_f64_e32 v[126:127], -0.5, v[12:13]
	v_fma_f64 v[148:149], s[10:11], v[8:9], v[126:127]
	v_add_f64 v[12:13], v[150:151], -v[146:147]
	v_add_f64 v[14:15], v[152:153], -v[154:155]
	v_fmac_f64_e32 v[126:127], s[16:17], v[8:9]
	v_add_f64 v[12:13], v[12:13], v[14:15]
	v_fmac_f64_e32 v[126:127], s[8:9], v[4:5]
	v_fmac_f64_e32 v[148:149], s[14:15], v[4:5]
	;; [unrolled: 1-line block ×3, first 2 shown]
	v_mul_f64 v[152:153], v[124:125], s[20:21]
	v_fmac_f64_e32 v[148:149], s[12:13], v[12:13]
	v_fmac_f64_e32 v[152:153], s[10:11], v[126:127]
	v_mul_f64 v[126:127], v[126:127], s[20:21]
	v_mul_f64 v[150:151], v[148:149], s[10:11]
	;; [unrolled: 1-line block ×3, first 2 shown]
	v_fmac_f64_e32 v[126:127], s[16:17], v[124:125]
	v_mul_f64 v[124:125], v[44:45], s[18:19]
	v_fmac_f64_e32 v[150:151], s[12:13], v[26:27]
	v_fmac_f64_e32 v[156:157], s[22:23], v[10:11]
	;; [unrolled: 1-line block ×3, first 2 shown]
	v_add_f64 v[12:13], v[28:29], v[36:37]
	v_mul_f64 v[146:147], v[10:11], s[8:9]
	v_add_f64 v[4:5], v[38:39], v[150:151]
	v_mul_f64 v[154:155], v[22:23], s[18:19]
	v_add_f64 v[14:15], v[34:35], v[162:163]
	v_add_f64 v[10:11], v[46:47], v[156:157]
	v_mul_f64 v[158:159], v[26:27], s[16:17]
	v_add_f64 v[26:27], v[42:43], v[126:127]
	v_add_f64 v[22:23], v[50:51], v[124:125]
	v_add_f64 v[36:37], v[28:29], -v[36:37]
	v_add_f64 v[28:29], v[38:39], -v[150:151]
	;; [unrolled: 1-line block ×6, first 2 shown]
	v_add_f64 v[50:51], v[16:17], v[122:123]
	v_add_f64 v[50:51], v[50:51], v[78:79]
	;; [unrolled: 1-line block ×5, first 2 shown]
	v_fmac_f64_e32 v[146:147], s[22:23], v[6:7]
	v_fmac_f64_e32 v[154:155], s[8:9], v[44:45]
	v_fmac_f64_e32 v[158:159], s[12:13], v[148:149]
	v_fma_f64 v[126:127], -0.5, v[50:51], v[16:17]
	v_add_f64 v[50:51], v[82:83], -v[58:59]
	v_add_f64 v[8:9], v[32:33], v[146:147]
	v_add_f64 v[24:25], v[40:41], v[152:153]
	;; [unrolled: 1-line block ×4, first 2 shown]
	v_add_f64 v[32:33], v[32:33], -v[146:147]
	v_add_f64 v[44:45], v[40:41], -v[152:153]
	;; [unrolled: 1-line block ×4, first 2 shown]
	v_fma_f64 v[146:147], s[10:11], v[50:51], v[126:127]
	v_add_f64 v[54:55], v[74:75], -v[66:67]
	v_add_f64 v[148:149], v[122:123], -v[78:79]
	;; [unrolled: 1-line block ×3, first 2 shown]
	v_fmac_f64_e32 v[126:127], s[16:17], v[50:51]
	v_fmac_f64_e32 v[146:147], s[8:9], v[54:55]
	v_add_f64 v[148:149], v[148:149], v[150:151]
	v_fmac_f64_e32 v[126:127], s[14:15], v[54:55]
	v_fmac_f64_e32 v[146:147], s[12:13], v[148:149]
	;; [unrolled: 1-line block ×3, first 2 shown]
	v_add_f64 v[148:149], v[122:123], v[62:63]
	v_fmac_f64_e32 v[16:17], -0.5, v[148:149]
	v_fma_f64 v[152:153], s[16:17], v[54:55], v[16:17]
	v_fmac_f64_e32 v[16:17], s[10:11], v[54:55]
	v_fmac_f64_e32 v[152:153], s[8:9], v[50:51]
	;; [unrolled: 1-line block ×3, first 2 shown]
	v_add_f64 v[50:51], v[18:19], v[82:83]
	v_add_f64 v[148:149], v[78:79], -v[122:123]
	v_add_f64 v[150:151], v[70:71], -v[62:63]
	v_add_f64 v[50:51], v[50:51], v[74:75]
	v_add_f64 v[148:149], v[148:149], v[150:151]
	;; [unrolled: 1-line block ×3, first 2 shown]
	v_fmac_f64_e32 v[152:153], s[12:13], v[148:149]
	v_fmac_f64_e32 v[16:17], s[12:13], v[148:149]
	v_add_f64 v[148:149], v[50:51], v[58:59]
	v_add_f64 v[50:51], v[74:75], v[66:67]
	v_fma_f64 v[150:151], -0.5, v[50:51], v[18:19]
	v_add_f64 v[50:51], v[122:123], -v[62:63]
	v_fma_f64 v[122:123], s[16:17], v[50:51], v[150:151]
	v_add_f64 v[54:55], v[78:79], -v[70:71]
	v_add_f64 v[62:63], v[82:83], -v[74:75]
	;; [unrolled: 1-line block ×3, first 2 shown]
	v_fmac_f64_e32 v[150:151], s[10:11], v[50:51]
	v_fmac_f64_e32 v[122:123], s[14:15], v[54:55]
	v_add_f64 v[62:63], v[62:63], v[70:71]
	v_fmac_f64_e32 v[150:151], s[8:9], v[54:55]
	v_fmac_f64_e32 v[122:123], s[12:13], v[62:63]
	;; [unrolled: 1-line block ×3, first 2 shown]
	v_add_f64 v[62:63], v[82:83], v[58:59]
	v_fmac_f64_e32 v[18:19], -0.5, v[62:63]
	v_fma_f64 v[70:71], s[10:11], v[54:55], v[18:19]
	v_fmac_f64_e32 v[18:19], s[16:17], v[54:55]
	v_fmac_f64_e32 v[70:71], s[14:15], v[50:51]
	;; [unrolled: 1-line block ×3, first 2 shown]
	v_add_f64 v[50:51], v[120:121], v[76:77]
	v_add_f64 v[50:51], v[50:51], v[68:69]
	;; [unrolled: 1-line block ×3, first 2 shown]
	v_add_f64 v[62:63], v[74:75], -v[82:83]
	v_add_f64 v[58:59], v[66:67], -v[58:59]
	v_add_f64 v[74:75], v[50:51], v[52:53]
	v_add_f64 v[50:51], v[68:69], v[60:61]
	;; [unrolled: 1-line block ×3, first 2 shown]
	v_fma_f64 v[62:63], -0.5, v[50:51], v[120:121]
	v_add_f64 v[50:51], v[72:73], -v[48:49]
	v_fmac_f64_e32 v[70:71], s[12:13], v[58:59]
	v_fmac_f64_e32 v[18:19], s[12:13], v[58:59]
	v_fma_f64 v[54:55], s[10:11], v[50:51], v[62:63]
	v_add_f64 v[58:59], v[64:65], -v[56:57]
	v_add_f64 v[66:67], v[76:77], -v[68:69]
	;; [unrolled: 1-line block ×3, first 2 shown]
	v_fmac_f64_e32 v[62:63], s[16:17], v[50:51]
	v_fmac_f64_e32 v[54:55], s[8:9], v[58:59]
	v_add_f64 v[66:67], v[66:67], v[78:79]
	v_fmac_f64_e32 v[62:63], s[14:15], v[58:59]
	v_fmac_f64_e32 v[54:55], s[12:13], v[66:67]
	v_fmac_f64_e32 v[62:63], s[12:13], v[66:67]
	v_add_f64 v[66:67], v[76:77], v[52:53]
	v_fmac_f64_e32 v[120:121], -0.5, v[66:67]
	v_fma_f64 v[66:67], s[16:17], v[58:59], v[120:121]
	v_fmac_f64_e32 v[120:121], s[10:11], v[58:59]
	v_fmac_f64_e32 v[66:67], s[8:9], v[50:51]
	;; [unrolled: 1-line block ×3, first 2 shown]
	v_add_f64 v[50:51], v[80:81], v[72:73]
	v_add_f64 v[78:79], v[68:69], -v[76:77]
	v_add_f64 v[82:83], v[60:61], -v[52:53]
	v_add_f64 v[50:51], v[50:51], v[64:65]
	v_add_f64 v[78:79], v[78:79], v[82:83]
	;; [unrolled: 1-line block ×3, first 2 shown]
	v_fmac_f64_e32 v[66:67], s[12:13], v[78:79]
	v_fmac_f64_e32 v[120:121], s[12:13], v[78:79]
	v_add_f64 v[78:79], v[50:51], v[48:49]
	v_add_f64 v[50:51], v[64:65], v[56:57]
	v_fma_f64 v[82:83], -0.5, v[50:51], v[80:81]
	v_add_f64 v[50:51], v[76:77], -v[52:53]
	v_fma_f64 v[76:77], s[16:17], v[50:51], v[82:83]
	v_add_f64 v[52:53], v[68:69], -v[60:61]
	v_add_f64 v[58:59], v[72:73], -v[64:65]
	;; [unrolled: 1-line block ×3, first 2 shown]
	v_fmac_f64_e32 v[82:83], s[10:11], v[50:51]
	v_fmac_f64_e32 v[76:77], s[14:15], v[52:53]
	v_add_f64 v[58:59], v[58:59], v[60:61]
	v_fmac_f64_e32 v[82:83], s[8:9], v[52:53]
	v_fmac_f64_e32 v[76:77], s[12:13], v[58:59]
	;; [unrolled: 1-line block ×3, first 2 shown]
	v_add_f64 v[58:59], v[72:73], v[48:49]
	v_fmac_f64_e32 v[80:81], -0.5, v[58:59]
	v_fma_f64 v[68:69], s[10:11], v[52:53], v[80:81]
	v_add_f64 v[58:59], v[64:65], -v[72:73]
	v_add_f64 v[48:49], v[56:57], -v[48:49]
	v_fmac_f64_e32 v[80:81], s[16:17], v[52:53]
	v_add_f64 v[48:49], v[58:59], v[48:49]
	v_fmac_f64_e32 v[80:81], s[8:9], v[50:51]
	v_fmac_f64_e32 v[80:81], s[12:13], v[48:49]
	;; [unrolled: 1-line block ×3, first 2 shown]
	v_mul_f64 v[164:165], v[80:81], s[20:21]
	v_fmac_f64_e32 v[68:69], s[12:13], v[48:49]
	v_mul_f64 v[156:157], v[120:121], s[20:21]
	v_fmac_f64_e32 v[164:165], s[16:17], v[120:121]
	v_mul_f64 v[120:121], v[82:83], s[18:19]
	v_mul_f64 v[154:155], v[68:69], s[10:11]
	;; [unrolled: 1-line block ×3, first 2 shown]
	v_fmac_f64_e32 v[120:121], s[14:15], v[62:63]
	v_fmac_f64_e32 v[154:155], s[12:13], v[66:67]
	;; [unrolled: 1-line block ×3, first 2 shown]
	v_mul_f64 v[162:163], v[66:67], s[16:17]
	v_add_f64 v[66:67], v[18:19], v[164:165]
	v_add_f64 v[62:63], v[150:151], v[120:121]
	v_add_f64 v[82:83], v[18:19], -v[164:165]
	v_add_f64 v[18:19], v[150:151], -v[120:121]
	v_add_f64 v[120:121], v[0:1], v[112:113]
	v_add_f64 v[120:121], v[120:121], v[114:115]
	v_mul_f64 v[160:161], v[54:55], s[14:15]
	v_add_f64 v[120:121], v[120:121], v[116:117]
	v_add_f64 v[56:57], v[124:125], v[74:75]
	v_mul_f64 v[72:73], v[76:77], s[8:9]
	v_fmac_f64_e32 v[156:157], s[10:11], v[80:81]
	v_fmac_f64_e32 v[160:161], s[22:23], v[76:77]
	v_add_f64 v[76:77], v[124:125], -v[74:75]
	v_add_f64 v[124:125], v[120:121], v[118:119]
	v_add_f64 v[120:121], v[114:115], v[116:117]
	v_fmac_f64_e32 v[72:73], s[22:23], v[54:55]
	v_add_f64 v[64:65], v[16:17], v[156:157]
	v_add_f64 v[60:61], v[126:127], v[158:159]
	v_add_f64 v[80:81], v[16:17], -v[156:157]
	v_add_f64 v[16:17], v[126:127], -v[158:159]
	v_fma_f64 v[126:127], -0.5, v[120:121], v[0:1]
	v_add_f64 v[120:121], v[104:105], -v[110:111]
	v_add_f64 v[52:53], v[146:147], v[72:73]
	v_add_f64 v[58:59], v[148:149], v[78:79]
	;; [unrolled: 1-line block ×3, first 2 shown]
	v_add_f64 v[72:73], v[146:147], -v[72:73]
	v_add_f64 v[78:79], v[148:149], -v[78:79]
	;; [unrolled: 1-line block ×3, first 2 shown]
	v_fma_f64 v[146:147], s[10:11], v[120:121], v[126:127]
	v_add_f64 v[122:123], v[106:107], -v[108:109]
	v_add_f64 v[148:149], v[112:113], -v[114:115]
	;; [unrolled: 1-line block ×3, first 2 shown]
	v_fmac_f64_e32 v[126:127], s[16:17], v[120:121]
	v_fmac_f64_e32 v[146:147], s[8:9], v[122:123]
	v_add_f64 v[148:149], v[148:149], v[150:151]
	v_fmac_f64_e32 v[126:127], s[14:15], v[122:123]
	v_fmac_f64_e32 v[146:147], s[12:13], v[148:149]
	;; [unrolled: 1-line block ×3, first 2 shown]
	v_add_f64 v[148:149], v[112:113], v[118:119]
	v_fmac_f64_e32 v[0:1], -0.5, v[148:149]
	v_fma_f64 v[150:151], s[16:17], v[122:123], v[0:1]
	v_fmac_f64_e32 v[0:1], s[10:11], v[122:123]
	v_fmac_f64_e32 v[150:151], s[8:9], v[120:121]
	;; [unrolled: 1-line block ×3, first 2 shown]
	v_add_f64 v[120:121], v[2:3], v[104:105]
	v_add_f64 v[48:49], v[152:153], v[154:155]
	v_fmac_f64_e32 v[162:163], s[12:13], v[68:69]
	v_add_f64 v[68:69], v[152:153], -v[154:155]
	v_add_f64 v[148:149], v[114:115], -v[112:113]
	v_add_f64 v[152:153], v[116:117], -v[118:119]
	v_add_f64 v[120:121], v[120:121], v[106:107]
	v_add_f64 v[148:149], v[148:149], v[152:153]
	;; [unrolled: 1-line block ×3, first 2 shown]
	v_fmac_f64_e32 v[150:151], s[12:13], v[148:149]
	v_fmac_f64_e32 v[0:1], s[12:13], v[148:149]
	v_add_f64 v[148:149], v[120:121], v[110:111]
	v_add_f64 v[120:121], v[106:107], v[108:109]
	v_fma_f64 v[120:121], -0.5, v[120:121], v[2:3]
	v_add_f64 v[112:113], v[112:113], -v[118:119]
	v_fma_f64 v[118:119], s[16:17], v[112:113], v[120:121]
	v_add_f64 v[114:115], v[114:115], -v[116:117]
	v_add_f64 v[116:117], v[104:105], -v[106:107]
	;; [unrolled: 1-line block ×3, first 2 shown]
	v_fmac_f64_e32 v[120:121], s[10:11], v[112:113]
	v_fmac_f64_e32 v[118:119], s[14:15], v[114:115]
	v_add_f64 v[116:117], v[116:117], v[122:123]
	v_fmac_f64_e32 v[120:121], s[8:9], v[114:115]
	v_fmac_f64_e32 v[118:119], s[12:13], v[116:117]
	;; [unrolled: 1-line block ×3, first 2 shown]
	v_add_f64 v[116:117], v[104:105], v[110:111]
	v_add_f64 v[104:105], v[106:107], -v[104:105]
	v_add_f64 v[106:107], v[108:109], -v[110:111]
	v_fmac_f64_e32 v[2:3], -0.5, v[116:117]
	v_add_f64 v[104:105], v[104:105], v[106:107]
	v_add_f64 v[106:107], v[94:95], v[96:97]
	v_fma_f64 v[152:153], s[10:11], v[114:115], v[2:3]
	v_fmac_f64_e32 v[2:3], s[16:17], v[114:115]
	v_fma_f64 v[106:107], -0.5, v[106:107], v[98:99]
	v_add_f64 v[108:109], v[84:85], -v[90:91]
	v_fmac_f64_e32 v[152:153], s[14:15], v[112:113]
	v_fmac_f64_e32 v[2:3], s[8:9], v[112:113]
	v_fma_f64 v[112:113], s[10:11], v[108:109], v[106:107]
	v_add_f64 v[110:111], v[86:87], -v[88:89]
	v_add_f64 v[114:115], v[92:93], -v[94:95]
	;; [unrolled: 1-line block ×3, first 2 shown]
	v_fmac_f64_e32 v[106:107], s[16:17], v[108:109]
	v_fmac_f64_e32 v[112:113], s[8:9], v[110:111]
	v_add_f64 v[114:115], v[114:115], v[116:117]
	v_fmac_f64_e32 v[106:107], s[14:15], v[110:111]
	v_fmac_f64_e32 v[112:113], s[12:13], v[114:115]
	;; [unrolled: 1-line block ×3, first 2 shown]
	v_add_f64 v[114:115], v[92:93], v[100:101]
	v_fmac_f64_e32 v[152:153], s[12:13], v[104:105]
	v_fmac_f64_e32 v[2:3], s[12:13], v[104:105]
	v_add_f64 v[104:105], v[98:99], v[92:93]
	v_fmac_f64_e32 v[98:99], -0.5, v[114:115]
	v_fma_f64 v[114:115], s[16:17], v[110:111], v[98:99]
	v_fmac_f64_e32 v[98:99], s[10:11], v[110:111]
	v_fmac_f64_e32 v[114:115], s[8:9], v[108:109]
	;; [unrolled: 1-line block ×3, first 2 shown]
	v_add_f64 v[108:109], v[102:103], v[84:85]
	v_add_f64 v[108:109], v[108:109], v[86:87]
	;; [unrolled: 1-line block ×4, first 2 shown]
	v_add_f64 v[116:117], v[94:95], -v[92:93]
	v_add_f64 v[122:123], v[96:97], -v[100:101]
	v_add_f64 v[110:111], v[108:109], v[90:91]
	v_add_f64 v[108:109], v[86:87], v[88:89]
	;; [unrolled: 1-line block ×4, first 2 shown]
	v_fma_f64 v[108:109], -0.5, v[108:109], v[102:103]
	v_add_f64 v[92:93], v[92:93], -v[100:101]
	v_add_f64 v[104:105], v[104:105], v[100:101]
	v_fmac_f64_e32 v[114:115], s[12:13], v[116:117]
	v_fmac_f64_e32 v[98:99], s[12:13], v[116:117]
	v_fma_f64 v[116:117], s[16:17], v[92:93], v[108:109]
	v_add_f64 v[94:95], v[94:95], -v[96:97]
	v_add_f64 v[96:97], v[84:85], -v[86:87]
	v_add_f64 v[100:101], v[90:91], -v[88:89]
	v_fmac_f64_e32 v[108:109], s[10:11], v[92:93]
	v_fmac_f64_e32 v[116:117], s[14:15], v[94:95]
	v_add_f64 v[96:97], v[96:97], v[100:101]
	v_fmac_f64_e32 v[108:109], s[8:9], v[94:95]
	v_fmac_f64_e32 v[116:117], s[12:13], v[96:97]
	v_fmac_f64_e32 v[108:109], s[12:13], v[96:97]
	v_add_f64 v[96:97], v[84:85], v[90:91]
	v_fmac_f64_e32 v[102:103], -0.5, v[96:97]
	v_fma_f64 v[122:123], s[10:11], v[94:95], v[102:103]
	v_add_f64 v[84:85], v[86:87], -v[84:85]
	v_add_f64 v[86:87], v[88:89], -v[90:91]
	v_fmac_f64_e32 v[102:103], s[16:17], v[94:95]
	v_fmac_f64_e32 v[122:123], s[14:15], v[92:93]
	v_add_f64 v[84:85], v[84:85], v[86:87]
	v_fmac_f64_e32 v[102:103], s[8:9], v[92:93]
	v_fmac_f64_e32 v[122:123], s[12:13], v[84:85]
	;; [unrolled: 1-line block ×3, first 2 shown]
	v_mul_f64 v[164:165], v[114:115], s[16:17]
	v_add_f64 v[50:51], v[70:71], v[162:163]
	v_add_f64 v[70:71], v[70:71], -v[162:163]
	v_mul_f64 v[156:157], v[122:123], s[10:11]
	v_mul_f64 v[162:163], v[112:113], s[14:15]
	v_fmac_f64_e32 v[164:165], s[12:13], v[122:123]
	v_mul_f64 v[166:167], v[102:103], s[20:21]
	v_mul_f64 v[122:123], v[108:109], s[18:19]
	;; [unrolled: 1-line block ×3, first 2 shown]
	v_fmac_f64_e32 v[162:163], s[22:23], v[116:117]
	v_fmac_f64_e32 v[166:167], s[16:17], v[98:99]
	;; [unrolled: 1-line block ×5, first 2 shown]
	v_add_f64 v[94:95], v[148:149], v[110:111]
	v_add_f64 v[90:91], v[118:119], v[162:163]
	;; [unrolled: 1-line block ×4, first 2 shown]
	v_add_f64 v[114:115], v[148:149], -v[110:111]
	v_add_f64 v[110:111], v[118:119], -v[162:163]
	;; [unrolled: 1-line block ×4, first 2 shown]
	v_mul_u32_u24_e32 v120, 0x12c, v132
	v_add_lshl_u32 v205, v120, v137, 4
	v_lshlrev_b32_e32 v120, 5, v130
	v_mov_b32_e32 v121, v233
	v_mul_f64 v[154:155], v[116:117], s[8:9]
	v_mul_f64 v[160:161], v[106:107], s[18:19]
	ds_write_b128 v205, v[12:15]
	ds_write_b128 v205, v[8:11] offset:480
	ds_write_b128 v205, v[4:7] offset:960
	;; [unrolled: 1-line block ×9, first 2 shown]
	v_mul_u32_u24_e32 v4, 0x12c, v139
	v_lshl_add_u64 v[120:121], s[6:7], 0, v[120:121]
	v_fmac_f64_e32 v[154:155], s[22:23], v[112:113]
	v_fmac_f64_e32 v[160:161], s[8:9], v[108:109]
	v_add_lshl_u32 v231, v4, v143, 4
	v_mad_legacy_u16 v4, v141, s24, v145
	v_add_co_u32_e32 v172, vcc, s27, v120
	v_add_f64 v[92:93], v[124:125], v[104:105]
	v_add_f64 v[88:89], v[146:147], v[154:155]
	;; [unrolled: 1-line block ×6, first 2 shown]
	v_add_f64 v[112:113], v[124:125], -v[104:105]
	v_add_f64 v[108:109], v[146:147], -v[154:155]
	;; [unrolled: 1-line block ×6, first 2 shown]
	v_lshlrev_b32_e32 v132, 4, v4
	s_mov_b64 s[24:25], 0x1290
	v_addc_co_u32_e32 v173, vcc, 0, v121, vcc
	ds_write_b128 v231, v[56:59]
	ds_write_b128 v231, v[52:55] offset:480
	ds_write_b128 v231, v[48:51] offset:960
	ds_write_b128 v231, v[64:67] offset:1440
	ds_write_b128 v231, v[60:63] offset:1920
	ds_write_b128 v231, v[76:79] offset:2400
	ds_write_b128 v231, v[72:75] offset:2880
	ds_write_b128 v231, v[68:71] offset:3360
	ds_write_b128 v231, v[80:83] offset:3840
	ds_write_b128 v231, v[16:19] offset:4320
	ds_write_b128 v132, v[92:95]
	ds_write_b128 v132, v[88:91] offset:480
	ds_write_b128 v132, v[84:87] offset:960
	;; [unrolled: 1-line block ×9, first 2 shown]
	s_waitcnt lgkmcnt(0)
	s_barrier
	ds_read_b128 v[36:39], v232
	ds_read_b128 v[116:119], v232 offset:14400
	ds_read_b128 v[112:115], v232 offset:28800
	ds_read_b128 v[32:35], v232 offset:1440
	ds_read_b128 v[108:111], v232 offset:15840
	ds_read_b128 v[104:107], v232 offset:30240
	ds_read_b128 v[28:31], v232 offset:2880
	ds_read_b128 v[100:103], v232 offset:17280
	ds_read_b128 v[96:99], v232 offset:31680
	ds_read_b128 v[24:27], v232 offset:4320
	ds_read_b128 v[92:95], v232 offset:18720
	ds_read_b128 v[88:91], v232 offset:33120
	ds_read_b128 v[20:23], v232 offset:5760
	ds_read_b128 v[84:87], v232 offset:20160
	ds_read_b128 v[80:83], v232 offset:34560
	ds_read_b128 v[16:19], v232 offset:7200
	ds_read_b128 v[76:79], v232 offset:21600
	ds_read_b128 v[72:75], v232 offset:36000
	ds_read_b128 v[12:15], v232 offset:8640
	ds_read_b128 v[68:71], v232 offset:23040
	ds_read_b128 v[64:67], v232 offset:37440
	ds_read_b128 v[8:11], v232 offset:10080
	ds_read_b128 v[60:63], v232 offset:24480
	ds_read_b128 v[56:59], v232 offset:38880
	ds_read_b128 v[4:7], v232 offset:11520
	ds_read_b128 v[52:55], v232 offset:25920
	ds_read_b128 v[48:51], v232 offset:40320
	ds_read_b128 v[0:3], v232 offset:12960
	ds_read_b128 v[44:47], v232 offset:27360
	ds_read_b128 v[40:43], v232 offset:41760
	v_lshl_add_u64 v[122:123], v[120:121], 0, s[24:25]
	global_load_dwordx4 v[148:151], v[172:173], off offset:656
	global_load_dwordx4 v[124:127], v[122:123], off offset:16
	s_waitcnt vmcnt(1) lgkmcnt(14)
	v_mul_f64 v[122:123], v[118:119], v[150:151]
	v_mov_b64_e32 v[152:153], v[150:151]
	v_mov_b64_e32 v[150:151], v[148:149]
	v_fma_f64 v[146:147], v[116:117], v[148:149], -v[122:123]
	v_mul_f64 v[148:149], v[116:117], v[152:153]
	v_accvgpr_write_b32 a68, v150
	s_waitcnt vmcnt(0)
	v_mul_f64 v[116:117], v[114:115], v[126:127]
	v_fmac_f64_e32 v[148:149], v[118:119], v[150:151]
	v_accvgpr_write_b32 a69, v151
	v_accvgpr_write_b32 a70, v152
	;; [unrolled: 1-line block ×3, first 2 shown]
	v_fma_f64 v[150:151], v[112:113], v[124:125], -v[116:117]
	v_mul_f64 v[112:113], v[112:113], v[126:127]
	v_fmac_f64_e32 v[112:113], v[114:115], v[124:125]
	v_lshlrev_b32_e32 v114, 5, v142
	v_mov_b32_e32 v115, v233
	v_lshl_add_u64 v[122:123], s[6:7], 0, v[114:115]
	v_add_co_u32_e32 v116, vcc, s27, v122
	v_accvgpr_write_b32 a64, v124
	s_nop 0
	v_addc_co_u32_e32 v117, vcc, 0, v123, vcc
	v_accvgpr_write_b32 a65, v125
	v_accvgpr_write_b32 a66, v126
	;; [unrolled: 1-line block ×3, first 2 shown]
	v_lshl_add_u64 v[114:115], v[122:123], 0, s[24:25]
	global_load_dwordx4 v[124:127], v[116:117], off offset:656
	s_nop 0
	global_load_dwordx4 v[116:119], v[114:115], off offset:16
	s_waitcnt vmcnt(1)
	v_mul_f64 v[114:115], v[110:111], v[126:127]
	v_fma_f64 v[142:143], v[108:109], v[124:125], -v[114:115]
	v_mul_f64 v[152:153], v[108:109], v[126:127]
	s_waitcnt vmcnt(0)
	v_mul_f64 v[108:109], v[106:107], v[118:119]
	v_accvgpr_write_b32 a56, v124
	v_fma_f64 v[154:155], v[104:105], v[116:117], -v[108:109]
	v_mul_f64 v[156:157], v[104:105], v[118:119]
	v_lshlrev_b32_e32 v104, 5, v144
	v_mov_b32_e32 v105, v233
	v_fmac_f64_e32 v[152:153], v[110:111], v[124:125]
	v_accvgpr_write_b32 a57, v125
	v_accvgpr_write_b32 a58, v126
	;; [unrolled: 1-line block ×3, first 2 shown]
	v_lshl_add_u64 v[124:125], s[6:7], 0, v[104:105]
	v_fmac_f64_e32 v[156:157], v[106:107], v[116:117]
	v_add_co_u32_e32 v106, vcc, s27, v124
	v_accvgpr_write_b32 a60, v116
	s_nop 0
	v_addc_co_u32_e32 v107, vcc, 0, v125, vcc
	v_accvgpr_write_b32 a61, v117
	v_accvgpr_write_b32 a62, v118
	;; [unrolled: 1-line block ×3, first 2 shown]
	v_lshl_add_u64 v[104:105], v[124:125], 0, s[24:25]
	global_load_dwordx4 v[114:117], v[106:107], off offset:656
	s_nop 0
	global_load_dwordx4 v[106:109], v[104:105], off offset:16
	v_cmp_gt_u16_e32 vcc, 30, v130
	s_waitcnt vmcnt(1)
	v_mul_f64 v[104:105], v[102:103], v[116:117]
	v_fma_f64 v[144:145], v[100:101], v[114:115], -v[104:105]
	v_mul_f64 v[158:159], v[100:101], v[116:117]
	s_waitcnt vmcnt(0)
	v_mul_f64 v[100:101], v[98:99], v[108:109]
	v_fma_f64 v[160:161], v[96:97], v[106:107], -v[100:101]
	v_mul_f64 v[164:165], v[96:97], v[108:109]
	v_lshl_add_u64 v[96:97], v[130:131], 0, s[30:31]
	v_cndmask_b32_e32 v127, v97, v235, vcc
	v_cndmask_b32_e32 v126, v96, v234, vcc
	v_lshlrev_b64 v[96:97], 5, v[126:127]
	v_lshl_add_u64 v[96:97], s[6:7], 0, v[96:97]
	v_fmac_f64_e32 v[164:165], v[98:99], v[106:107]
	v_lshl_add_u64 v[98:99], v[96:97], 0, s[24:25]
	v_add_co_u32_e32 v96, vcc, s27, v96
	v_fmac_f64_e32 v[158:159], v[102:103], v[114:115]
	s_nop 0
	v_addc_co_u32_e32 v97, vcc, 0, v97, vcc
	global_load_dwordx4 v[102:105], v[96:97], off offset:656
	s_nop 0
	global_load_dwordx4 v[98:101], v[98:99], off offset:16
	s_mov_b64 s[30:31], 0x1a10
	v_accvgpr_write_b32 a44, v114
	v_accvgpr_write_b32 a45, v115
	;; [unrolled: 1-line block ×8, first 2 shown]
	s_waitcnt vmcnt(1)
	v_mul_f64 v[96:97], v[94:95], v[104:105]
	v_fma_f64 v[162:163], v[92:93], v[102:103], -v[96:97]
	v_mul_f64 v[166:167], v[92:93], v[104:105]
	s_waitcnt vmcnt(0)
	v_mul_f64 v[92:93], v[90:91], v[100:101]
	v_mul_f64 v[170:171], v[88:89], v[100:101]
	v_fmac_f64_e32 v[166:167], v[94:95], v[102:103]
	v_fma_f64 v[168:169], v[88:89], v[98:99], -v[92:93]
	v_fmac_f64_e32 v[170:171], v[90:91], v[98:99]
	v_lshl_add_u64 v[88:89], v[120:121], 0, s[30:31]
	global_load_dwordx4 v[90:93], v[172:173], off offset:2576
	global_load_dwordx4 v[94:97], v[88:89], off offset:16
	s_mov_b64 s[30:31], 0x2550
	v_accvgpr_write_b32 a40, v102
	v_accvgpr_write_b32 a41, v103
	;; [unrolled: 1-line block ×8, first 2 shown]
	s_waitcnt vmcnt(1)
	v_mul_f64 v[88:89], v[86:87], v[92:93]
	s_waitcnt vmcnt(0)
	v_mul_f64 v[178:179], v[80:81], v[96:97]
	v_fma_f64 v[172:173], v[84:85], v[90:91], -v[88:89]
	v_mul_f64 v[174:175], v[84:85], v[92:93]
	v_mul_f64 v[84:85], v[82:83], v[96:97]
	v_fmac_f64_e32 v[178:179], v[82:83], v[94:95]
	v_add_co_u32_e32 v82, vcc, s28, v120
	v_fmac_f64_e32 v[174:175], v[86:87], v[90:91]
	s_nop 0
	v_addc_co_u32_e32 v83, vcc, 0, v121, vcc
	v_fma_f64 v[176:177], v[80:81], v[94:95], -v[84:85]
	v_lshl_add_u64 v[80:81], v[120:121], 0, s[30:31]
	global_load_dwordx4 v[86:89], v[82:83], off offset:1360
	s_nop 0
	global_load_dwordx4 v[82:85], v[80:81], off offset:16
	v_accvgpr_write_b32 a32, v94
	v_accvgpr_write_b32 a33, v95
	v_accvgpr_write_b32 a34, v96
	v_accvgpr_write_b32 a35, v97
	v_accvgpr_write_b32 a36, v90
	v_accvgpr_write_b32 a37, v91
	v_accvgpr_write_b32 a38, v92
	v_accvgpr_write_b32 a39, v93
	s_waitcnt vmcnt(1) lgkmcnt(13)
	v_mul_f64 v[80:81], v[78:79], v[88:89]
	v_fma_f64 v[180:181], v[76:77], v[86:87], -v[80:81]
	v_mul_f64 v[182:183], v[76:77], v[88:89]
	s_waitcnt vmcnt(0) lgkmcnt(12)
	v_mul_f64 v[76:77], v[74:75], v[84:85]
	v_fma_f64 v[184:185], v[72:73], v[82:83], -v[76:77]
	v_mul_f64 v[186:187], v[72:73], v[84:85]
	v_lshrrev_b16_e32 v72, 2, v140
	v_mul_u32_u24_e32 v72, 0x6d3b, v72
	v_lshrrev_b32_e32 v139, 21, v72
	v_mul_lo_u16_e32 v72, 0x12c, v139
	v_sub_u16_e32 v141, v140, v72
	v_lshlrev_b16_e32 v72, 5, v141
	v_mov_b32_e32 v73, v233
	v_lshl_add_u64 v[72:73], s[6:7], 0, v[72:73]
	v_fmac_f64_e32 v[186:187], v[74:75], v[82:83]
	v_lshl_add_u64 v[74:75], v[72:73], 0, s[24:25]
	v_add_co_u32_e32 v72, vcc, s27, v72
	v_fmac_f64_e32 v[182:183], v[78:79], v[86:87]
	s_nop 0
	v_addc_co_u32_e32 v73, vcc, 0, v73, vcc
	global_load_dwordx4 v[78:81], v[72:73], off offset:656
	s_nop 0
	global_load_dwordx4 v[74:77], v[74:75], off offset:16
	v_accvgpr_write_b32 a28, v86
	v_accvgpr_write_b32 a29, v87
	v_accvgpr_write_b32 a30, v88
	v_accvgpr_write_b32 a31, v89
	v_accvgpr_write_b32 a24, v82
	v_accvgpr_write_b32 a25, v83
	v_accvgpr_write_b32 a26, v84
	v_accvgpr_write_b32 a27, v85
	s_waitcnt vmcnt(1) lgkmcnt(10)
	v_mul_f64 v[72:73], v[70:71], v[80:81]
	v_fma_f64 v[188:189], v[68:69], v[78:79], -v[72:73]
	v_mul_f64 v[190:191], v[68:69], v[80:81]
	s_waitcnt vmcnt(0) lgkmcnt(9)
	v_mul_f64 v[68:69], v[66:67], v[76:77]
	v_fma_f64 v[192:193], v[64:65], v[74:75], -v[68:69]
	v_mul_f64 v[194:195], v[64:65], v[76:77]
	v_lshrrev_b16_e32 v64, 2, v138
	v_mul_u32_u24_e32 v64, 0x6d3b, v64
	v_lshrrev_b32_e32 v64, 21, v64
	v_mul_lo_u16_e32 v64, 0x12c, v64
	v_sub_u16_e32 v131, v138, v64
	v_lshlrev_b16_e32 v64, 5, v131
	v_mov_b32_e32 v65, v233
	v_lshl_add_u64 v[64:65], s[6:7], 0, v[64:65]
	v_fmac_f64_e32 v[194:195], v[66:67], v[74:75]
	v_lshl_add_u64 v[66:67], v[64:65], 0, s[24:25]
	v_add_co_u32_e32 v64, vcc, s27, v64
	v_fmac_f64_e32 v[190:191], v[70:71], v[78:79]
	s_nop 0
	v_addc_co_u32_e32 v65, vcc, 0, v65, vcc
	;; [unrolled: 33-line block ×3, first 2 shown]
	global_load_dwordx4 v[62:65], v[56:57], off offset:656
	s_nop 0
	global_load_dwordx4 v[58:61], v[58:59], off offset:16
	v_accvgpr_write_b32 a12, v70
	v_accvgpr_write_b32 a13, v71
	;; [unrolled: 1-line block ×8, first 2 shown]
	s_waitcnt vmcnt(1) lgkmcnt(4)
	v_mul_f64 v[56:57], v[54:55], v[64:65]
	v_fma_f64 v[212:213], v[52:53], v[62:63], -v[56:57]
	v_mul_f64 v[214:215], v[52:53], v[64:65]
	s_waitcnt vmcnt(0) lgkmcnt(3)
	v_mul_f64 v[52:53], v[50:51], v[60:61]
	v_fma_f64 v[216:217], v[48:49], v[58:59], -v[52:53]
	v_mul_f64 v[218:219], v[48:49], v[60:61]
	v_lshrrev_b16_e32 v48, 2, v202
	v_mul_u32_u24_e32 v48, 0x6d3b, v48
	v_lshrrev_b32_e32 v48, 21, v48
	v_mul_lo_u16_e32 v48, 0x12c, v48
	v_sub_u16_e32 v127, v202, v48
	v_lshlrev_b16_e32 v48, 5, v127
	v_mov_b32_e32 v49, v233
	v_lshl_add_u64 v[48:49], s[6:7], 0, v[48:49]
	v_fmac_f64_e32 v[218:219], v[50:51], v[58:59]
	v_lshl_add_u64 v[50:51], v[48:49], 0, s[24:25]
	v_add_co_u32_e32 v48, vcc, s27, v48
	v_accvgpr_write_b32 a4, v62
	s_nop 0
	v_addc_co_u32_e32 v49, vcc, 0, v49, vcc
	global_load_dwordx4 v[222:225], v[48:49], off offset:656
	global_load_dwordx4 v[226:229], v[50:51], off offset:16
	v_accvgpr_write_b32 a5, v63
	v_accvgpr_write_b32 a6, v64
	;; [unrolled: 1-line block ×7, first 2 shown]
	v_fmac_f64_e32 v[214:215], v[54:55], v[62:63]
	s_waitcnt lgkmcnt(0)
	s_barrier
	v_cmp_lt_u16_e32 vcc, 29, v130
	s_movk_i32 s24, 0x384
	s_waitcnt vmcnt(1)
	v_mul_f64 v[48:49], v[46:47], v[224:225]
	v_fma_f64 v[220:221], v[44:45], v[222:223], -v[48:49]
	v_mul_f64 v[238:239], v[44:45], v[224:225]
	s_waitcnt vmcnt(0)
	v_mul_f64 v[44:45], v[42:43], v[228:229]
	v_fma_f64 v[240:241], v[40:41], v[226:227], -v[44:45]
	v_mul_f64 v[242:243], v[40:41], v[228:229]
	v_add_f64 v[40:41], v[36:37], v[146:147]
	v_add_f64 v[116:117], v[40:41], v[150:151]
	v_add_f64 v[40:41], v[146:147], v[150:151]
	v_fmac_f64_e32 v[36:37], -0.5, v[40:41]
	v_add_f64 v[40:41], v[148:149], -v[112:113]
	v_fma_f64 v[108:109], s[2:3], v[40:41], v[36:37]
	v_fmac_f64_e32 v[36:37], s[4:5], v[40:41]
	v_add_f64 v[40:41], v[38:39], v[148:149]
	v_add_f64 v[118:119], v[40:41], v[112:113]
	v_add_f64 v[40:41], v[148:149], v[112:113]
	v_fmac_f64_e32 v[38:39], -0.5, v[40:41]
	v_add_f64 v[40:41], v[146:147], -v[150:151]
	v_fma_f64 v[110:111], s[4:5], v[40:41], v[38:39]
	v_fmac_f64_e32 v[38:39], s[2:3], v[40:41]
	;; [unrolled: 7-line block ×18, first 2 shown]
	v_add_f64 v[40:41], v[0:1], v[220:221]
	ds_write_b128 v232, v[116:119]
	ds_write_b128 v232, v[108:111] offset:4800
	ds_write_b128 v232, v[36:39] offset:9600
	ds_write_b128 v232, v[112:115] offset:1440
	ds_write_b128 v232, v[104:107] offset:6240
	ds_write_b128 v232, v[32:35] offset:11040
	ds_write_b128 v232, v[100:103] offset:2880
	ds_write_b128 v232, v[96:99] offset:7680
	ds_write_b128 v232, v[28:31] offset:12480
	v_mov_b32_e32 v28, 0x384
	v_fmac_f64_e32 v[238:239], v[46:47], v[222:223]
	v_fmac_f64_e32 v[242:243], v[42:43], v[226:227]
	v_add_f64 v[44:45], v[40:41], v[240:241]
	v_add_f64 v[40:41], v[220:221], v[240:241]
	v_cndmask_b32_e32 v28, 0, v28, vcc
	v_fmac_f64_e32 v[0:1], -0.5, v[40:41]
	v_add_f64 v[42:43], v[238:239], -v[242:243]
	v_add_lshl_u32 v28, v126, v28, 4
	v_fma_f64 v[40:41], s[2:3], v[42:43], v[0:1]
	v_fmac_f64_e32 v[0:1], s[4:5], v[42:43]
	v_add_f64 v[42:43], v[2:3], v[238:239]
	ds_write_b128 v28, v[92:95]
	ds_write_b128 v28, v[88:91] offset:4800
	ds_write_b128 v28, v[24:27] offset:9600
	;; [unrolled: 1-line block ×8, first 2 shown]
	v_mad_legacy_u16 v16, v139, s24, v141
	v_add_f64 v[46:47], v[42:43], v[242:243]
	v_add_f64 v[42:43], v[238:239], v[242:243]
	v_lshlrev_b32_e32 v16, 4, v16
	s_mov_b64 s[24:25], 0x3810
	v_fmac_f64_e32 v[2:3], -0.5, v[42:43]
	v_add_f64 v[142:143], v[220:221], -v[240:241]
	ds_write_b128 v16, v[68:71]
	ds_write_b128 v16, v[64:67] offset:4800
	ds_write_b128 v16, v[12:15] offset:9600
	v_lshlrev_b32_e32 v12, 4, v131
	v_lshlrev_b32_e32 v131, 4, v127
	v_lshl_add_u64 v[126:127], v[120:121], 0, s[24:25]
	v_add_co_u32_e32 v120, vcc, s26, v120
	v_fma_f64 v[42:43], s[4:5], v[142:143], v[2:3]
	v_fmac_f64_e32 v[2:3], s[2:3], v[142:143]
	ds_write_b128 v12, v[60:63] offset:28800
	ds_write_b128 v12, v[56:59] offset:33600
	;; [unrolled: 1-line block ×3, first 2 shown]
	v_lshlrev_b32_e32 v8, 4, v137
	v_addc_co_u32_e32 v121, vcc, 0, v121, vcc
	v_accvgpr_write_b32 a168, v28
	v_accvgpr_write_b32 a255, v16
	;; [unrolled: 1-line block ×3, first 2 shown]
	ds_write_b128 v8, v[52:55] offset:28800
	ds_write_b128 v8, v[48:51] offset:33600
	;; [unrolled: 1-line block ×3, first 2 shown]
	v_accvgpr_write_b32 a169, v8
	ds_write_b128 v131, v[44:47] offset:28800
	ds_write_b128 v131, v[40:43] offset:33600
	ds_write_b128 v131, v[0:3] offset:38400
	s_waitcnt lgkmcnt(0)
	s_barrier
	ds_read_b128 v[36:39], v232
	ds_read_b128 v[116:119], v232 offset:14400
	ds_read_b128 v[112:115], v232 offset:28800
	;; [unrolled: 1-line block ×29, first 2 shown]
	global_load_dwordx4 v[214:217], v[120:121], off offset:2064
	global_load_dwordx4 v[218:221], v[126:127], off offset:16
	s_waitcnt vmcnt(1) lgkmcnt(14)
	v_mul_f64 v[120:121], v[118:119], v[216:217]
	s_waitcnt vmcnt(0)
	v_mul_f64 v[248:249], v[112:113], v[220:221]
	v_fma_f64 v[120:121], v[116:117], v[214:215], -v[120:121]
	v_mul_f64 v[126:127], v[116:117], v[216:217]
	v_mul_f64 v[116:117], v[114:115], v[220:221]
	v_fmac_f64_e32 v[248:249], v[114:115], v[218:219]
	v_add_co_u32_e32 v114, vcc, s26, v122
	v_fma_f64 v[246:247], v[112:113], v[218:219], -v[116:117]
	s_nop 0
	v_addc_co_u32_e32 v115, vcc, 0, v123, vcc
	v_lshl_add_u64 v[112:113], v[122:123], 0, s[24:25]
	global_load_dwordx4 v[206:209], v[114:115], off offset:2064
	global_load_dwordx4 v[210:213], v[112:113], off offset:16
	v_fmac_f64_e32 v[126:127], v[118:119], v[214:215]
	s_waitcnt vmcnt(1)
	v_mul_f64 v[112:113], v[110:111], v[208:209]
	s_waitcnt vmcnt(0)
	v_mul_f64 v[250:251], v[104:105], v[212:213]
	v_fma_f64 v[122:123], v[108:109], v[206:207], -v[112:113]
	v_mul_f64 v[242:243], v[108:109], v[208:209]
	v_mul_f64 v[108:109], v[106:107], v[212:213]
	v_fmac_f64_e32 v[250:251], v[106:107], v[210:211]
	v_add_co_u32_e32 v106, vcc, s26, v124
	v_fma_f64 v[244:245], v[104:105], v[210:211], -v[108:109]
	s_nop 0
	v_addc_co_u32_e32 v107, vcc, 0, v125, vcc
	v_lshl_add_u64 v[104:105], v[124:125], 0, s[24:25]
	global_load_dwordx4 v[188:191], v[106:107], off offset:2064
	global_load_dwordx4 v[192:195], v[104:105], off offset:16
	v_fmac_f64_e32 v[242:243], v[110:111], v[206:207]
	s_waitcnt vmcnt(1)
	v_mul_f64 v[104:105], v[102:103], v[190:191]
	v_fma_f64 v[124:125], v[100:101], v[188:189], -v[104:105]
	v_mul_f64 v[252:253], v[100:101], v[190:191]
	s_waitcnt vmcnt(0)
	v_mul_f64 v[100:101], v[98:99], v[194:195]
	v_fmac_f64_e32 v[252:253], v[102:103], v[188:189]
	v_fma_f64 v[100:101], v[96:97], v[192:193], -v[100:101]
	v_mul_f64 v[102:103], v[96:97], v[194:195]
	v_lshlrev_b32_e32 v96, 5, v234
	v_mov_b32_e32 v97, v233
	v_lshl_add_u64 v[96:97], s[6:7], 0, v[96:97]
	v_fmac_f64_e32 v[102:103], v[98:99], v[192:193]
	v_lshl_add_u64 v[98:99], v[96:97], 0, s[24:25]
	v_add_co_u32_e32 v96, vcc, s26, v96
	s_nop 1
	v_addc_co_u32_e32 v97, vcc, 0, v97, vcc
	global_load_dwordx4 v[180:183], v[96:97], off offset:2064
	global_load_dwordx4 v[184:187], v[98:99], off offset:16
	s_waitcnt vmcnt(1)
	v_mul_f64 v[96:97], v[94:95], v[182:183]
	v_fma_f64 v[96:97], v[92:93], v[180:181], -v[96:97]
	v_mul_f64 v[92:93], v[92:93], v[182:183]
	v_fmac_f64_e32 v[92:93], v[94:95], v[180:181]
	s_waitcnt vmcnt(0)
	v_mul_f64 v[94:95], v[90:91], v[186:187]
	v_fma_f64 v[94:95], v[88:89], v[184:185], -v[94:95]
	v_mul_f64 v[88:89], v[88:89], v[186:187]
	v_fmac_f64_e32 v[88:89], v[90:91], v[184:185]
	v_lshlrev_b32_e32 v90, 5, v236
	v_mov_b32_e32 v91, v233
	v_lshl_add_u64 v[90:91], s[6:7], 0, v[90:91]
	v_lshl_add_u64 v[98:99], v[90:91], 0, s[24:25]
	v_add_co_u32_e32 v90, vcc, s26, v90
	s_nop 1
	v_addc_co_u32_e32 v91, vcc, 0, v91, vcc
	global_load_dwordx4 v[172:175], v[90:91], off offset:2064
	global_load_dwordx4 v[176:179], v[98:99], off offset:16
	s_waitcnt vmcnt(1)
	v_mul_f64 v[90:91], v[86:87], v[174:175]
	v_fma_f64 v[90:91], v[84:85], v[172:173], -v[90:91]
	v_mul_f64 v[84:85], v[84:85], v[174:175]
	v_fmac_f64_e32 v[84:85], v[86:87], v[172:173]
	s_waitcnt vmcnt(0)
	v_mul_f64 v[86:87], v[82:83], v[178:179]
	v_fma_f64 v[86:87], v[80:81], v[176:177], -v[86:87]
	v_mul_f64 v[80:81], v[80:81], v[178:179]
	v_fmac_f64_e32 v[80:81], v[82:83], v[176:177]
	v_lshlrev_b32_e32 v82, 5, v237
	v_mov_b32_e32 v83, v233
	v_lshl_add_u64 v[82:83], s[6:7], 0, v[82:83]
	v_lshl_add_u64 v[98:99], v[82:83], 0, s[24:25]
	v_add_co_u32_e32 v82, vcc, s26, v82
	s_nop 1
	v_addc_co_u32_e32 v83, vcc, 0, v83, vcc
	global_load_dwordx4 v[164:167], v[82:83], off offset:2064
	global_load_dwordx4 v[168:171], v[98:99], off offset:16
	s_waitcnt vmcnt(1) lgkmcnt(13)
	v_mul_f64 v[82:83], v[78:79], v[166:167]
	v_fma_f64 v[238:239], v[76:77], v[164:165], -v[82:83]
	v_mul_f64 v[240:241], v[76:77], v[166:167]
	s_waitcnt vmcnt(0) lgkmcnt(12)
	v_mul_f64 v[76:77], v[74:75], v[170:171]
	v_fma_f64 v[76:77], v[72:73], v[168:169], -v[76:77]
	v_mul_f64 v[72:73], v[72:73], v[170:171]
	v_fmac_f64_e32 v[72:73], v[74:75], v[168:169]
	v_lshlrev_b32_e32 v74, 5, v140
	v_mov_b32_e32 v75, v233
	v_lshl_add_u64 v[74:75], s[6:7], 0, v[74:75]
	v_fmac_f64_e32 v[240:241], v[78:79], v[164:165]
	v_lshl_add_u64 v[78:79], v[74:75], 0, s[24:25]
	v_add_co_u32_e32 v74, vcc, s26, v74
	s_nop 1
	v_addc_co_u32_e32 v75, vcc, 0, v75, vcc
	global_load_dwordx4 v[156:159], v[74:75], off offset:2064
	global_load_dwordx4 v[160:163], v[78:79], off offset:16
	s_waitcnt vmcnt(1) lgkmcnt(10)
	v_mul_f64 v[74:75], v[70:71], v[158:159]
	v_fma_f64 v[234:235], v[68:69], v[156:157], -v[74:75]
	v_mul_f64 v[236:237], v[68:69], v[158:159]
	s_waitcnt vmcnt(0) lgkmcnt(9)
	v_mul_f64 v[68:69], v[66:67], v[162:163]
	v_fma_f64 v[68:69], v[64:65], v[160:161], -v[68:69]
	v_mul_f64 v[64:65], v[64:65], v[162:163]
	v_fmac_f64_e32 v[64:65], v[66:67], v[160:161]
	v_lshlrev_b32_e32 v66, 5, v138
	v_mov_b32_e32 v67, v233
	v_lshl_add_u64 v[66:67], s[6:7], 0, v[66:67]
	v_fmac_f64_e32 v[236:237], v[70:71], v[156:157]
	v_lshl_add_u64 v[70:71], v[66:67], 0, s[24:25]
	v_add_co_u32_e32 v66, vcc, s26, v66
	s_nop 1
	v_addc_co_u32_e32 v67, vcc, 0, v67, vcc
	global_load_dwordx4 v[148:151], v[66:67], off offset:2064
	global_load_dwordx4 v[152:155], v[70:71], off offset:16
	s_waitcnt vmcnt(1) lgkmcnt(7)
	v_mul_f64 v[66:67], v[62:63], v[150:151]
	v_fma_f64 v[66:67], v[60:61], v[148:149], -v[66:67]
	v_mul_f64 v[60:61], v[60:61], v[150:151]
	v_fmac_f64_e32 v[60:61], v[62:63], v[148:149]
	s_waitcnt vmcnt(0) lgkmcnt(6)
	v_mul_f64 v[62:63], v[58:59], v[154:155]
	v_fma_f64 v[62:63], v[56:57], v[152:153], -v[62:63]
	v_mul_f64 v[56:57], v[56:57], v[154:155]
	v_fmac_f64_e32 v[56:57], v[58:59], v[152:153]
	v_lshlrev_b32_e32 v58, 5, v136
	v_mov_b32_e32 v59, v233
	v_lshl_add_u64 v[58:59], s[6:7], 0, v[58:59]
	v_lshl_add_u64 v[70:71], v[58:59], 0, s[24:25]
	v_add_co_u32_e32 v58, vcc, s26, v58
	s_nop 1
	v_addc_co_u32_e32 v59, vcc, 0, v59, vcc
	global_load_dwordx4 v[140:143], v[58:59], off offset:2064
	global_load_dwordx4 v[144:147], v[70:71], off offset:16
	s_waitcnt vmcnt(1) lgkmcnt(4)
	v_mul_f64 v[58:59], v[54:55], v[142:143]
	v_fma_f64 v[58:59], v[52:53], v[140:141], -v[58:59]
	v_mul_f64 v[52:53], v[52:53], v[142:143]
	v_fmac_f64_e32 v[52:53], v[54:55], v[140:141]
	s_waitcnt vmcnt(0) lgkmcnt(3)
	v_mul_f64 v[54:55], v[50:51], v[146:147]
	v_fma_f64 v[54:55], v[48:49], v[144:145], -v[54:55]
	v_mul_f64 v[48:49], v[48:49], v[146:147]
	v_fmac_f64_e32 v[48:49], v[50:51], v[144:145]
	v_lshlrev_b32_e32 v50, 5, v202
	v_mov_b32_e32 v51, v233
	v_lshl_add_u64 v[50:51], s[6:7], 0, v[50:51]
	v_lshl_add_u64 v[70:71], v[50:51], 0, s[24:25]
	v_add_co_u32_e32 v50, vcc, s26, v50
	s_mov_b64 s[6:7], 0xa8c0
	s_nop 0
	v_addc_co_u32_e32 v51, vcc, 0, v51, vcc
	global_load_dwordx4 v[200:203], v[50:51], off offset:2064
	global_load_dwordx4 v[136:139], v[70:71], off offset:16
	s_waitcnt vmcnt(1) lgkmcnt(1)
	v_mul_f64 v[50:51], v[46:47], v[202:203]
	v_fma_f64 v[50:51], v[44:45], v[200:201], -v[50:51]
	v_mul_f64 v[44:45], v[44:45], v[202:203]
	v_fmac_f64_e32 v[44:45], v[46:47], v[200:201]
	s_waitcnt vmcnt(0) lgkmcnt(0)
	v_mul_f64 v[46:47], v[42:43], v[138:139]
	v_fma_f64 v[46:47], v[40:41], v[136:137], -v[46:47]
	v_mul_f64 v[40:41], v[40:41], v[138:139]
	v_fmac_f64_e32 v[40:41], v[42:43], v[136:137]
	v_add_f64 v[42:43], v[36:37], v[120:121]
	v_add_f64 v[116:117], v[42:43], v[246:247]
	v_add_f64 v[42:43], v[120:121], v[246:247]
	v_fmac_f64_e32 v[36:37], -0.5, v[42:43]
	v_add_f64 v[42:43], v[126:127], -v[248:249]
	v_fma_f64 v[112:113], s[2:3], v[42:43], v[36:37]
	v_fmac_f64_e32 v[36:37], s[4:5], v[42:43]
	v_add_f64 v[42:43], v[38:39], v[126:127]
	v_add_f64 v[118:119], v[42:43], v[248:249]
	v_add_f64 v[42:43], v[126:127], v[248:249]
	v_fmac_f64_e32 v[38:39], -0.5, v[42:43]
	v_add_f64 v[42:43], v[120:121], -v[246:247]
	v_fma_f64 v[114:115], s[4:5], v[42:43], v[38:39]
	;; [unrolled: 7-line block ×20, first 2 shown]
	v_fmac_f64_e32 v[34:35], s[2:3], v[40:41]
	ds_write_b128 v232, v[116:119]
	ds_write_b128 v232, v[112:115] offset:14400
	ds_write_b128 v232, v[36:39] offset:28800
	;; [unrolled: 1-line block ×29, first 2 shown]
	s_waitcnt lgkmcnt(0)
	s_barrier
	global_load_dwordx4 v[4:7], v[254:255], off offset:2240
	ds_read_b128 v[0:3], v232
	v_lshl_add_u64 v[14:15], v[128:129], 0, s[6:7]
	s_mov_b32 s6, 0xe000
	v_add_co_u32_e32 v16, vcc, s6, v128
	s_mov_b32 s6, 0x11000
	s_nop 0
	v_addc_co_u32_e32 v17, vcc, 0, v129, vcc
	s_waitcnt vmcnt(0) lgkmcnt(0)
	v_mul_f64 v[8:9], v[2:3], v[6:7]
	v_mul_f64 v[10:11], v[0:1], v[6:7]
	v_fma_f64 v[8:9], v[0:1], v[4:5], -v[8:9]
	v_fmac_f64_e32 v[10:11], v[2:3], v[4:5]
	global_load_dwordx4 v[4:7], v[16:17], off offset:256
	ds_read_b128 v[0:3], v232 offset:14400
	ds_write_b128 v232, v[8:11]
	s_waitcnt vmcnt(0) lgkmcnt(1)
	v_mul_f64 v[8:9], v[2:3], v[6:7]
	v_fma_f64 v[8:9], v[0:1], v[4:5], -v[8:9]
	v_mul_f64 v[10:11], v[0:1], v[6:7]
	v_add_co_u32_e32 v0, vcc, s6, v128
	v_fmac_f64_e32 v[10:11], v[2:3], v[4:5]
	s_nop 0
	v_addc_co_u32_e32 v1, vcc, 0, v129, vcc
	ds_write_b128 v232, v[8:11] offset:14400
	global_load_dwordx4 v[6:9], v[0:1], off offset:2368
	ds_read_b128 v[2:5], v232 offset:28800
	s_mov_b32 s6, 0x12000
	s_waitcnt vmcnt(0) lgkmcnt(0)
	v_mul_f64 v[10:11], v[4:5], v[8:9]
	v_mul_f64 v[12:13], v[2:3], v[8:9]
	v_fma_f64 v[10:11], v[2:3], v[6:7], -v[10:11]
	v_fmac_f64_e32 v[12:13], v[4:5], v[6:7]
	global_load_dwordx4 v[6:9], v[14:15], off offset:1440
	ds_read_b128 v[2:5], v232 offset:1440
	ds_write_b128 v232, v[10:13] offset:28800
	s_waitcnt vmcnt(0) lgkmcnt(1)
	v_mul_f64 v[10:11], v[4:5], v[8:9]
	v_mul_f64 v[12:13], v[2:3], v[8:9]
	v_fma_f64 v[10:11], v[2:3], v[6:7], -v[10:11]
	v_fmac_f64_e32 v[12:13], v[4:5], v[6:7]
	global_load_dwordx4 v[6:9], v[16:17], off offset:1696
	ds_read_b128 v[2:5], v232 offset:15840
	ds_write_b128 v232, v[10:13] offset:1440
	;; [unrolled: 8-line block ×4, first 2 shown]
	v_add_co_u32_e32 v14, vcc, s6, v128
	s_mov_b32 s6, 0xb000
	s_nop 0
	v_addc_co_u32_e32 v15, vcc, 0, v129, vcc
	s_waitcnt vmcnt(0) lgkmcnt(1)
	v_mul_f64 v[10:11], v[4:5], v[8:9]
	v_mul_f64 v[12:13], v[2:3], v[8:9]
	v_fma_f64 v[10:11], v[2:3], v[6:7], -v[10:11]
	v_fmac_f64_e32 v[12:13], v[4:5], v[6:7]
	global_load_dwordx4 v[6:9], v[16:17], off offset:3136
	ds_read_b128 v[2:5], v232 offset:17280
	ds_write_b128 v232, v[10:13] offset:2880
	v_add_co_u32_e32 v16, vcc, s6, v128
	s_mov_b32 s6, 0xf000
	s_nop 0
	v_addc_co_u32_e32 v17, vcc, 0, v129, vcc
	v_add_co_u32_e32 v18, vcc, s6, v128
	s_mov_b32 s6, 0xc000
	s_nop 0
	v_addc_co_u32_e32 v19, vcc, 0, v129, vcc
	s_waitcnt vmcnt(0) lgkmcnt(1)
	v_mul_f64 v[10:11], v[4:5], v[8:9]
	v_mul_f64 v[12:13], v[2:3], v[8:9]
	v_fma_f64 v[10:11], v[2:3], v[6:7], -v[10:11]
	v_fmac_f64_e32 v[12:13], v[4:5], v[6:7]
	global_load_dwordx4 v[6:9], v[14:15], off offset:1152
	ds_read_b128 v[2:5], v232 offset:31680
	ds_write_b128 v232, v[10:13] offset:17280
	s_waitcnt vmcnt(0) lgkmcnt(1)
	v_mul_f64 v[10:11], v[4:5], v[8:9]
	v_mul_f64 v[12:13], v[2:3], v[8:9]
	v_fma_f64 v[10:11], v[2:3], v[6:7], -v[10:11]
	v_fmac_f64_e32 v[12:13], v[4:5], v[6:7]
	global_load_dwordx4 v[6:9], v[16:17], off offset:2464
	ds_read_b128 v[2:5], v232 offset:4320
	ds_write_b128 v232, v[10:13] offset:31680
	;; [unrolled: 8-line block ×6, first 2 shown]
	s_waitcnt vmcnt(0) lgkmcnt(1)
	v_mul_f64 v[10:11], v[4:5], v[8:9]
	v_mul_f64 v[12:13], v[2:3], v[8:9]
	v_fma_f64 v[10:11], v[2:3], v[6:7], -v[10:11]
	v_fmac_f64_e32 v[12:13], v[4:5], v[6:7]
	global_load_dwordx4 v[6:9], v[14:15], off offset:4032
	ds_read_b128 v[2:5], v232 offset:34560
	v_add_co_u32_e32 v14, vcc, s6, v128
	ds_write_b128 v232, v[10:13] offset:20160
	s_nop 0
	v_addc_co_u32_e32 v15, vcc, 0, v129, vcc
	s_mov_b32 s6, 0x13000
	v_add_co_u32_e32 v16, vcc, s6, v128
	s_mov_b32 s6, 0x10000
	s_nop 0
	v_addc_co_u32_e32 v17, vcc, 0, v129, vcc
	s_waitcnt vmcnt(0) lgkmcnt(1)
	v_mul_f64 v[10:11], v[4:5], v[8:9]
	v_mul_f64 v[12:13], v[2:3], v[8:9]
	v_fma_f64 v[10:11], v[2:3], v[6:7], -v[10:11]
	v_fmac_f64_e32 v[12:13], v[4:5], v[6:7]
	global_load_dwordx4 v[6:9], v[14:15], off offset:1248
	ds_read_b128 v[2:5], v232 offset:7200
	ds_write_b128 v232, v[10:13] offset:34560
	s_waitcnt vmcnt(0) lgkmcnt(1)
	v_mul_f64 v[10:11], v[4:5], v[8:9]
	v_mul_f64 v[12:13], v[2:3], v[8:9]
	v_fma_f64 v[10:11], v[2:3], v[6:7], -v[10:11]
	v_fmac_f64_e32 v[12:13], v[4:5], v[6:7]
	global_load_dwordx4 v[6:9], v[18:19], off offset:3360
	ds_read_b128 v[2:5], v232 offset:21600
	ds_write_b128 v232, v[10:13] offset:7200
	v_add_co_u32_e32 v18, vcc, s6, v128
	s_mov_b32 s6, 0xd000
	s_nop 0
	v_addc_co_u32_e32 v19, vcc, 0, v129, vcc
	v_add_co_u32_e32 v20, vcc, s6, v128
	s_mov_b32 s6, 0x14000
	s_nop 0
	v_addc_co_u32_e32 v21, vcc, 0, v129, vcc
	s_waitcnt vmcnt(0) lgkmcnt(1)
	v_mul_f64 v[10:11], v[4:5], v[8:9]
	v_mul_f64 v[12:13], v[2:3], v[8:9]
	v_fma_f64 v[10:11], v[2:3], v[6:7], -v[10:11]
	v_fmac_f64_e32 v[12:13], v[4:5], v[6:7]
	global_load_dwordx4 v[6:9], v[16:17], off offset:1376
	ds_read_b128 v[2:5], v232 offset:36000
	ds_write_b128 v232, v[10:13] offset:21600
	s_waitcnt vmcnt(0) lgkmcnt(1)
	v_mul_f64 v[10:11], v[4:5], v[8:9]
	v_mul_f64 v[12:13], v[2:3], v[8:9]
	v_fma_f64 v[10:11], v[2:3], v[6:7], -v[10:11]
	v_fmac_f64_e32 v[12:13], v[4:5], v[6:7]
	global_load_dwordx4 v[6:9], v[14:15], off offset:2688
	ds_read_b128 v[2:5], v232 offset:8640
	ds_write_b128 v232, v[10:13] offset:36000
	;; [unrolled: 8-line block ×6, first 2 shown]
	s_waitcnt vmcnt(0) lgkmcnt(1)
	v_mul_f64 v[12:13], v[2:3], v[8:9]
	v_mul_f64 v[10:11], v[4:5], v[8:9]
	v_fmac_f64_e32 v[12:13], v[4:5], v[6:7]
	v_add_co_u32_e32 v4, vcc, s6, v128
	v_fma_f64 v[10:11], v[2:3], v[6:7], -v[10:11]
	s_nop 0
	v_addc_co_u32_e32 v5, vcc, 0, v129, vcc
	ds_write_b128 v232, v[10:13] offset:24480
	global_load_dwordx4 v[10:13], v[4:5], off offset:160
	ds_read_b128 v[6:9], v232 offset:38880
	s_waitcnt vmcnt(0) lgkmcnt(0)
	v_mul_f64 v[2:3], v[8:9], v[12:13]
	v_mul_f64 v[16:17], v[6:7], v[12:13]
	v_fma_f64 v[14:15], v[6:7], v[10:11], -v[2:3]
	v_fmac_f64_e32 v[16:17], v[8:9], v[10:11]
	global_load_dwordx4 v[10:13], v[20:21], off offset:1472
	ds_read_b128 v[6:9], v232 offset:11520
	ds_write_b128 v232, v[14:17] offset:38880
	s_waitcnt vmcnt(0) lgkmcnt(1)
	v_mul_f64 v[2:3], v[8:9], v[12:13]
	v_mul_f64 v[16:17], v[6:7], v[12:13]
	v_fma_f64 v[14:15], v[6:7], v[10:11], -v[2:3]
	v_fmac_f64_e32 v[16:17], v[8:9], v[10:11]
	global_load_dwordx4 v[10:13], v[18:19], off offset:3584
	ds_read_b128 v[6:9], v232 offset:25920
	ds_write_b128 v232, v[14:17] offset:11520
	;; [unrolled: 8-line block ×4, first 2 shown]
	s_waitcnt vmcnt(0) lgkmcnt(1)
	v_mul_f64 v[2:3], v[8:9], v[12:13]
	v_fma_f64 v[14:15], v[6:7], v[10:11], -v[2:3]
	global_load_dwordx4 v[0:3], v[0:1], off offset:928
	v_mul_f64 v[16:17], v[6:7], v[12:13]
	v_fmac_f64_e32 v[16:17], v[8:9], v[10:11]
	ds_read_b128 v[6:9], v232 offset:27360
	ds_write_b128 v232, v[14:17] offset:12960
	s_waitcnt vmcnt(0) lgkmcnt(1)
	v_mul_f64 v[10:11], v[8:9], v[2:3]
	v_fma_f64 v[10:11], v[6:7], v[0:1], -v[10:11]
	v_mul_f64 v[12:13], v[6:7], v[2:3]
	global_load_dwordx4 v[4:7], v[4:5], off offset:3040
	v_fmac_f64_e32 v[12:13], v[8:9], v[0:1]
	ds_read_b128 v[0:3], v232 offset:41760
	ds_write_b128 v232, v[10:13] offset:27360
	s_waitcnt vmcnt(0) lgkmcnt(1)
	v_mul_f64 v[8:9], v[2:3], v[6:7]
	v_mul_f64 v[10:11], v[0:1], v[6:7]
	v_fma_f64 v[8:9], v[0:1], v[4:5], -v[8:9]
	v_fmac_f64_e32 v[10:11], v[2:3], v[4:5]
	ds_write_b128 v232, v[8:11] offset:41760
	s_waitcnt lgkmcnt(0)
	s_barrier
	ds_read_b128 v[36:39], v232
	ds_read_b128 v[96:99], v232 offset:14400
	ds_read_b128 v[100:103], v232 offset:28800
	;; [unrolled: 1-line block ×29, first 2 shown]
	s_waitcnt lgkmcnt(14)
	v_add_f64 v[122:123], v[96:97], v[100:101]
	v_add_f64 v[120:121], v[36:37], v[96:97]
	v_fmac_f64_e32 v[36:37], -0.5, v[122:123]
	v_add_f64 v[122:123], v[98:99], -v[102:103]
	v_fma_f64 v[124:125], s[4:5], v[122:123], v[36:37]
	v_fmac_f64_e32 v[36:37], s[2:3], v[122:123]
	v_add_f64 v[122:123], v[38:39], v[98:99]
	v_add_f64 v[98:99], v[98:99], v[102:103]
	v_fmac_f64_e32 v[38:39], -0.5, v[98:99]
	v_add_f64 v[96:97], v[96:97], -v[100:101]
	v_fma_f64 v[126:127], s[2:3], v[96:97], v[38:39]
	v_fmac_f64_e32 v[38:39], s[4:5], v[96:97]
	v_add_f64 v[96:97], v[32:33], v[104:105]
	v_add_f64 v[120:121], v[120:121], v[100:101]
	v_add_f64 v[100:101], v[96:97], v[108:109]
	v_add_f64 v[96:97], v[104:105], v[108:109]
	v_fmac_f64_e32 v[32:33], -0.5, v[96:97]
	v_add_f64 v[98:99], v[106:107], -v[110:111]
	v_fma_f64 v[96:97], s[4:5], v[98:99], v[32:33]
	v_fmac_f64_e32 v[32:33], s[2:3], v[98:99]
	v_add_f64 v[98:99], v[34:35], v[106:107]
	v_add_f64 v[122:123], v[122:123], v[102:103]
	;; [unrolled: 8-line block ×3, first 2 shown]
	v_add_f64 v[104:105], v[80:81], v[84:85]
	v_fmac_f64_e32 v[28:29], -0.5, v[104:105]
	v_add_f64 v[106:107], v[82:83], -v[86:87]
	v_fma_f64 v[104:105], s[4:5], v[106:107], v[28:29]
	v_fmac_f64_e32 v[28:29], s[2:3], v[106:107]
	v_add_f64 v[106:107], v[30:31], v[82:83]
	v_add_f64 v[82:83], v[82:83], v[86:87]
	v_fmac_f64_e32 v[30:31], -0.5, v[82:83]
	v_add_f64 v[80:81], v[80:81], -v[84:85]
	v_add_f64 v[82:83], v[112:113], v[116:117]
	v_add_f64 v[110:111], v[106:107], v[86:87]
	v_fma_f64 v[106:107], s[2:3], v[80:81], v[30:31]
	v_fmac_f64_e32 v[30:31], s[4:5], v[80:81]
	v_add_f64 v[80:81], v[24:25], v[112:113]
	v_fmac_f64_e32 v[24:25], -0.5, v[82:83]
	v_add_f64 v[82:83], v[114:115], -v[118:119]
	v_add_f64 v[86:87], v[114:115], v[118:119]
	v_fma_f64 v[84:85], s[4:5], v[82:83], v[24:25]
	v_fmac_f64_e32 v[24:25], s[2:3], v[82:83]
	v_add_f64 v[82:83], v[26:27], v[114:115]
	v_fmac_f64_e32 v[26:27], -0.5, v[86:87]
	v_add_f64 v[112:113], v[112:113], -v[116:117]
	v_fma_f64 v[86:87], s[2:3], v[112:113], v[26:27]
	v_fmac_f64_e32 v[26:27], s[4:5], v[112:113]
	v_add_f64 v[112:113], v[20:21], v[88:89]
	v_add_f64 v[80:81], v[80:81], v[116:117]
	;; [unrolled: 1-line block ×4, first 2 shown]
	v_fmac_f64_e32 v[20:21], -0.5, v[112:113]
	v_add_f64 v[114:115], v[90:91], -v[94:95]
	v_fma_f64 v[112:113], s[4:5], v[114:115], v[20:21]
	v_fmac_f64_e32 v[20:21], s[2:3], v[114:115]
	v_add_f64 v[114:115], v[22:23], v[90:91]
	v_add_f64 v[90:91], v[90:91], v[94:95]
	v_fmac_f64_e32 v[22:23], -0.5, v[90:91]
	v_add_f64 v[88:89], v[88:89], -v[92:93]
	v_add_f64 v[82:83], v[82:83], v[118:119]
	v_add_f64 v[118:119], v[114:115], v[94:95]
	v_fma_f64 v[114:115], s[2:3], v[88:89], v[22:23]
	v_fmac_f64_e32 v[22:23], s[4:5], v[88:89]
	s_waitcnt lgkmcnt(13)
	v_add_f64 v[88:89], v[16:17], v[72:73]
	s_waitcnt lgkmcnt(12)
	v_add_f64 v[92:93], v[88:89], v[76:77]
	v_add_f64 v[88:89], v[72:73], v[76:77]
	v_fmac_f64_e32 v[16:17], -0.5, v[88:89]
	v_add_f64 v[90:91], v[74:75], -v[78:79]
	v_fma_f64 v[88:89], s[4:5], v[90:91], v[16:17]
	v_fmac_f64_e32 v[16:17], s[2:3], v[90:91]
	v_add_f64 v[90:91], v[18:19], v[74:75]
	v_add_f64 v[74:75], v[74:75], v[78:79]
	v_fmac_f64_e32 v[18:19], -0.5, v[74:75]
	v_add_f64 v[72:73], v[72:73], -v[76:77]
	v_add_f64 v[94:95], v[90:91], v[78:79]
	v_fma_f64 v[90:91], s[2:3], v[72:73], v[18:19]
	v_fmac_f64_e32 v[18:19], s[4:5], v[72:73]
	s_waitcnt lgkmcnt(10)
	v_add_f64 v[72:73], v[12:13], v[64:65]
	s_waitcnt lgkmcnt(9)
	v_add_f64 v[76:77], v[72:73], v[68:69]
	v_add_f64 v[72:73], v[64:65], v[68:69]
	v_fmac_f64_e32 v[12:13], -0.5, v[72:73]
	v_add_f64 v[74:75], v[66:67], -v[70:71]
	v_fma_f64 v[72:73], s[4:5], v[74:75], v[12:13]
	v_fmac_f64_e32 v[12:13], s[2:3], v[74:75]
	v_add_f64 v[74:75], v[14:15], v[66:67]
	v_add_f64 v[66:67], v[66:67], v[70:71]
	v_fmac_f64_e32 v[14:15], -0.5, v[66:67]
	v_add_f64 v[64:65], v[64:65], -v[68:69]
	;; [unrolled: 16-line block ×5, first 2 shown]
	v_add_f64 v[54:55], v[50:51], v[46:47]
	v_fma_f64 v[50:51], s[2:3], v[40:41], v[2:3]
	v_fmac_f64_e32 v[2:3], s[4:5], v[40:41]
	s_barrier
	scratch_load_dword v40, off, off offset:8 ; 4-byte Folded Reload
	s_waitcnt vmcnt(0)
	ds_write_b128 v40, v[120:123]
	ds_write_b128 v40, v[124:127] offset:16
	ds_write_b128 v40, v[36:39] offset:32
	scratch_load_dword v36, off, off offset:32 ; 4-byte Folded Reload
	s_waitcnt vmcnt(0)
	ds_write_b128 v36, v[100:103]
	ds_write_b128 v36, v[96:99] offset:16
	ds_write_b128 v36, v[32:35] offset:32
	;; [unrolled: 5-line block ×8, first 2 shown]
	scratch_load_dword v8, off, off         ; 4-byte Folded Reload
	s_waitcnt vmcnt(0)
	ds_write_b128 v8, v[60:63]
	ds_write_b128 v8, v[56:59] offset:16
	ds_write_b128 v8, v[4:7] offset:32
	scratch_load_dword v4, off, off offset:12 ; 4-byte Folded Reload
	s_waitcnt vmcnt(0)
	ds_write_b128 v4, v[52:55]
	ds_write_b128 v4, v[48:51] offset:16
	ds_write_b128 v4, v[0:3] offset:32
	s_waitcnt lgkmcnt(0)
	s_barrier
	ds_read_b128 v[8:11], v232
	ds_read_b128 v[116:119], v232 offset:4320
	ds_read_b128 v[112:115], v232 offset:8640
	;; [unrolled: 1-line block ×29, first 2 shown]
	scratch_load_dwordx4 v[120:123], off, off offset:568 ; 16-byte Folded Reload
	s_waitcnt vmcnt(0) lgkmcnt(14)
	v_mul_f64 v[248:249], v[122:123], v[118:119]
	v_fmac_f64_e32 v[248:249], v[120:121], v[116:117]
	v_mul_f64 v[116:117], v[122:123], v[116:117]
	v_fma_f64 v[246:247], v[120:121], v[118:119], -v[116:117]
	scratch_load_dwordx4 v[118:121], off, off offset:552 ; 16-byte Folded Reload
	s_waitcnt vmcnt(0)
	v_mul_f64 v[116:117], v[120:121], v[114:115]
	v_fmac_f64_e32 v[116:117], v[118:119], v[112:113]
	v_mul_f64 v[112:113], v[120:121], v[112:113]
	v_fma_f64 v[114:115], v[118:119], v[114:115], -v[112:113]
	scratch_load_dwordx4 v[118:121], off, off offset:536 ; 16-byte Folded Reload
	s_waitcnt vmcnt(0)
	;; [unrolled: 6-line block ×3, first 2 shown]
	v_mul_f64 v[110:111], v[120:121], v[106:107]
	v_fmac_f64_e32 v[110:111], v[118:119], v[104:105]
	v_mul_f64 v[104:105], v[120:121], v[104:105]
	v_fma_f64 v[106:107], v[118:119], v[106:107], -v[104:105]
	v_accvgpr_read_b32 v118, a164
	v_accvgpr_read_b32 v120, a166
	;; [unrolled: 1-line block ×4, first 2 shown]
	v_mul_f64 v[104:105], v[120:121], v[102:103]
	v_fmac_f64_e32 v[104:105], v[118:119], v[100:101]
	v_mul_f64 v[100:101], v[120:121], v[100:101]
	v_fma_f64 v[100:101], v[118:119], v[102:103], -v[100:101]
	scratch_load_dwordx4 v[118:121], off, off offset:640 ; 16-byte Folded Reload
	s_waitcnt vmcnt(0)
	v_mul_f64 v[102:103], v[120:121], v[98:99]
	v_fmac_f64_e32 v[102:103], v[118:119], v[96:97]
	v_mul_f64 v[96:97], v[120:121], v[96:97]
	v_fma_f64 v[98:99], v[118:119], v[98:99], -v[96:97]
	scratch_load_dwordx4 v[118:121], off, off offset:624 ; 16-byte Folded Reload
	s_waitcnt vmcnt(0)
	;; [unrolled: 6-line block ×3, first 2 shown]
	v_mul_f64 v[94:95], v[120:121], v[90:91]
	v_fmac_f64_e32 v[94:95], v[118:119], v[88:89]
	v_mul_f64 v[88:89], v[120:121], v[88:89]
	v_fma_f64 v[90:91], v[118:119], v[90:91], -v[88:89]
	scratch_load_dwordx4 v[118:121], off, off offset:584 ; 16-byte Folded Reload
	s_waitcnt lgkmcnt(0)
	s_barrier
	s_waitcnt vmcnt(0)
	v_mul_f64 v[88:89], v[120:121], v[82:83]
	v_fmac_f64_e32 v[88:89], v[118:119], v[80:81]
	v_mul_f64 v[80:81], v[120:121], v[80:81]
	v_fma_f64 v[80:81], v[118:119], v[82:83], -v[80:81]
	v_accvgpr_read_b32 v118, a238
	v_accvgpr_read_b32 v120, a240
	;; [unrolled: 1-line block ×4, first 2 shown]
	v_mul_f64 v[254:255], v[120:121], v[86:87]
	v_mul_f64 v[82:83], v[120:121], v[84:85]
	v_fmac_f64_e32 v[254:255], v[118:119], v[84:85]
	v_fma_f64 v[252:253], v[118:119], v[86:87], -v[82:83]
	v_accvgpr_read_b32 v82, a222
	v_accvgpr_read_b32 v84, a224
	v_accvgpr_read_b32 v85, a225
	v_accvgpr_read_b32 v83, a223
	v_mul_f64 v[250:251], v[84:85], v[78:79]
	v_fmac_f64_e32 v[250:251], v[82:83], v[76:77]
	v_mul_f64 v[76:77], v[84:85], v[76:77]
	v_fma_f64 v[78:79], v[82:83], v[78:79], -v[76:77]
	v_accvgpr_read_b32 v82, a234
	v_accvgpr_read_b32 v84, a236
	v_accvgpr_read_b32 v85, a237
	v_accvgpr_read_b32 v83, a235
	v_mul_f64 v[76:77], v[84:85], v[74:75]
	v_fmac_f64_e32 v[76:77], v[82:83], v[72:73]
	v_mul_f64 v[72:73], v[84:85], v[72:73]
	;; [unrolled: 8-line block ×17, first 2 shown]
	v_fma_f64 v[12:13], v[40:41], v[14:15], -v[12:13]
	v_add_f64 v[14:15], v[8:9], v[116:117]
	v_add_f64 v[14:15], v[14:15], v[110:111]
	v_add_f64 v[14:15], v[14:15], v[102:103]
	v_add_f64 v[40:41], v[14:15], v[94:95]
	v_add_f64 v[14:15], v[110:111], v[102:103]
	v_fma_f64 v[14:15], -0.5, v[14:15], v[8:9]
	v_add_f64 v[44:45], v[114:115], -v[90:91]
	v_fma_f64 v[42:43], s[16:17], v[44:45], v[14:15]
	v_add_f64 v[46:47], v[106:107], -v[98:99]
	v_add_f64 v[50:51], v[116:117], -v[110:111]
	v_add_f64 v[82:83], v[94:95], -v[102:103]
	v_fmac_f64_e32 v[14:15], s[10:11], v[44:45]
	v_fmac_f64_e32 v[42:43], s[14:15], v[46:47]
	v_add_f64 v[50:51], v[50:51], v[82:83]
	v_fmac_f64_e32 v[14:15], s[8:9], v[46:47]
	v_fmac_f64_e32 v[42:43], s[12:13], v[50:51]
	;; [unrolled: 1-line block ×3, first 2 shown]
	v_add_f64 v[50:51], v[116:117], v[94:95]
	v_fmac_f64_e32 v[8:9], -0.5, v[50:51]
	v_fma_f64 v[50:51], s[10:11], v[46:47], v[8:9]
	v_add_f64 v[82:83], v[110:111], -v[116:117]
	v_add_f64 v[84:85], v[102:103], -v[94:95]
	v_fmac_f64_e32 v[8:9], s[16:17], v[46:47]
	v_add_f64 v[46:47], v[106:107], v[98:99]
	v_fmac_f64_e32 v[50:51], s[14:15], v[44:45]
	v_add_f64 v[82:83], v[82:83], v[84:85]
	v_fmac_f64_e32 v[8:9], s[8:9], v[44:45]
	v_fma_f64 v[46:47], -0.5, v[46:47], v[10:11]
	v_add_f64 v[84:85], v[116:117], -v[94:95]
	v_fmac_f64_e32 v[50:51], s[12:13], v[82:83]
	v_fmac_f64_e32 v[8:9], s[12:13], v[82:83]
	v_fma_f64 v[82:83], s[10:11], v[84:85], v[46:47]
	v_add_f64 v[94:95], v[110:111], -v[102:103]
	v_add_f64 v[86:87], v[114:115], -v[106:107]
	;; [unrolled: 1-line block ×3, first 2 shown]
	v_fmac_f64_e32 v[46:47], s[16:17], v[84:85]
	v_add_f64 v[44:45], v[10:11], v[114:115]
	v_fmac_f64_e32 v[82:83], s[8:9], v[94:95]
	v_add_f64 v[86:87], v[86:87], v[102:103]
	;; [unrolled: 2-line block ×3, first 2 shown]
	v_fmac_f64_e32 v[82:83], s[12:13], v[86:87]
	v_fmac_f64_e32 v[46:47], s[12:13], v[86:87]
	v_add_f64 v[86:87], v[114:115], v[90:91]
	v_add_f64 v[44:45], v[44:45], v[98:99]
	v_fmac_f64_e32 v[10:11], -0.5, v[86:87]
	v_add_f64 v[44:45], v[44:45], v[90:91]
	v_fma_f64 v[86:87], s[16:17], v[94:95], v[10:11]
	v_add_f64 v[102:103], v[106:107], -v[114:115]
	v_add_f64 v[90:91], v[98:99], -v[90:91]
	v_fmac_f64_e32 v[10:11], s[10:11], v[94:95]
	v_fmac_f64_e32 v[86:87], s[8:9], v[84:85]
	v_add_f64 v[90:91], v[102:103], v[90:91]
	v_fmac_f64_e32 v[10:11], s[14:15], v[84:85]
	v_fmac_f64_e32 v[86:87], s[12:13], v[90:91]
	;; [unrolled: 1-line block ×3, first 2 shown]
	v_add_f64 v[90:91], v[104:105], v[96:97]
	v_fma_f64 v[90:91], -0.5, v[90:91], v[248:249]
	v_add_f64 v[94:95], v[108:109], -v[80:81]
	v_fma_f64 v[98:99], s[16:17], v[94:95], v[90:91]
	v_add_f64 v[102:103], v[100:101], -v[92:93]
	v_add_f64 v[106:107], v[112:113], -v[104:105]
	;; [unrolled: 1-line block ×3, first 2 shown]
	v_fmac_f64_e32 v[90:91], s[10:11], v[94:95]
	v_fmac_f64_e32 v[98:99], s[14:15], v[102:103]
	v_add_f64 v[106:107], v[106:107], v[110:111]
	v_fmac_f64_e32 v[90:91], s[8:9], v[102:103]
	v_add_f64 v[84:85], v[248:249], v[112:113]
	v_fmac_f64_e32 v[98:99], s[12:13], v[106:107]
	v_fmac_f64_e32 v[90:91], s[12:13], v[106:107]
	v_add_f64 v[106:107], v[112:113], v[88:89]
	v_add_f64 v[84:85], v[84:85], v[104:105]
	v_fmac_f64_e32 v[248:249], -0.5, v[106:107]
	v_add_f64 v[84:85], v[84:85], v[96:97]
	v_fma_f64 v[106:107], s[10:11], v[102:103], v[248:249]
	v_add_f64 v[110:111], v[104:105], -v[112:113]
	v_add_f64 v[114:115], v[96:97], -v[88:89]
	v_fmac_f64_e32 v[248:249], s[16:17], v[102:103]
	v_add_f64 v[102:103], v[100:101], v[92:93]
	v_add_f64 v[84:85], v[84:85], v[88:89]
	v_fmac_f64_e32 v[106:107], s[14:15], v[94:95]
	v_add_f64 v[110:111], v[110:111], v[114:115]
	v_fmac_f64_e32 v[248:249], s[8:9], v[94:95]
	v_fma_f64 v[234:235], -0.5, v[102:103], v[246:247]
	v_add_f64 v[88:89], v[112:113], -v[88:89]
	v_fmac_f64_e32 v[106:107], s[12:13], v[110:111]
	v_fmac_f64_e32 v[248:249], s[12:13], v[110:111]
	v_fma_f64 v[102:103], s[10:11], v[88:89], v[234:235]
	v_add_f64 v[96:97], v[104:105], -v[96:97]
	v_add_f64 v[104:105], v[108:109], -v[100:101]
	;; [unrolled: 1-line block ×3, first 2 shown]
	v_fmac_f64_e32 v[234:235], s[16:17], v[88:89]
	v_add_f64 v[94:95], v[246:247], v[108:109]
	v_fmac_f64_e32 v[102:103], s[8:9], v[96:97]
	v_add_f64 v[104:105], v[104:105], v[110:111]
	;; [unrolled: 2-line block ×3, first 2 shown]
	v_fmac_f64_e32 v[102:103], s[12:13], v[104:105]
	v_fmac_f64_e32 v[234:235], s[12:13], v[104:105]
	v_add_f64 v[104:105], v[108:109], v[80:81]
	v_add_f64 v[94:95], v[94:95], v[92:93]
	v_fmac_f64_e32 v[246:247], -0.5, v[104:105]
	v_add_f64 v[94:95], v[94:95], v[80:81]
	v_fma_f64 v[118:119], s[16:17], v[96:97], v[246:247]
	v_add_f64 v[100:101], v[100:101], -v[108:109]
	v_add_f64 v[80:81], v[92:93], -v[80:81]
	v_fmac_f64_e32 v[246:247], s[10:11], v[96:97]
	v_add_f64 v[80:81], v[100:101], v[80:81]
	v_fmac_f64_e32 v[246:247], s[14:15], v[88:89]
	v_fmac_f64_e32 v[118:119], s[8:9], v[88:89]
	;; [unrolled: 1-line block ×4, first 2 shown]
	v_mul_f64 v[80:81], v[102:103], s[14:15]
	v_mul_f64 v[236:237], v[246:247], s[16:17]
	v_fmac_f64_e32 v[80:81], s[22:23], v[98:99]
	v_fmac_f64_e32 v[236:237], s[20:21], v[248:249]
	v_add_f64 v[112:113], v[42:43], v[80:81]
	v_add_f64 v[100:101], v[8:9], v[236:237]
	v_add_f64 v[92:93], v[42:43], -v[80:81]
	v_add_f64 v[80:81], v[8:9], -v[236:237]
	v_add_f64 v[8:9], v[4:5], v[250:251]
	v_mul_f64 v[240:241], v[102:103], s[22:23]
	v_mul_f64 v[242:243], v[246:247], s[20:21]
	v_add_f64 v[8:9], v[8:9], v[74:75]
	v_mul_f64 v[238:239], v[234:235], s[14:15]
	v_fmac_f64_e32 v[240:241], s[8:9], v[98:99]
	v_fmac_f64_e32 v[242:243], s[10:11], v[248:249]
	v_mul_f64 v[234:235], v[234:235], s[18:19]
	v_add_f64 v[8:9], v[8:9], v[66:67]
	v_fmac_f64_e32 v[238:239], s[18:19], v[90:91]
	v_add_f64 v[110:111], v[44:45], v[94:95]
	v_add_f64 v[114:115], v[82:83], v[240:241]
	v_mul_f64 v[98:99], v[118:119], s[12:13]
	v_add_f64 v[102:103], v[10:11], v[242:243]
	v_fmac_f64_e32 v[234:235], s[8:9], v[90:91]
	v_add_f64 v[90:91], v[44:45], -v[94:95]
	v_add_f64 v[94:95], v[82:83], -v[240:241]
	;; [unrolled: 1-line block ×3, first 2 shown]
	v_add_f64 v[10:11], v[8:9], v[58:59]
	v_add_f64 v[8:9], v[74:75], v[66:67]
	v_mul_f64 v[96:97], v[118:119], s[16:17]
	v_fmac_f64_e32 v[98:99], s[10:11], v[106:107]
	v_fma_f64 v[8:9], -0.5, v[8:9], v[4:5]
	v_add_f64 v[42:43], v[78:79], -v[54:55]
	v_add_f64 v[108:109], v[40:41], v[84:85]
	v_fmac_f64_e32 v[96:97], s[12:13], v[106:107]
	v_add_f64 v[104:105], v[14:15], v[238:239]
	v_add_f64 v[118:119], v[86:87], v[98:99]
	;; [unrolled: 1-line block ×3, first 2 shown]
	v_add_f64 v[88:89], v[40:41], -v[84:85]
	v_add_f64 v[84:85], v[14:15], -v[238:239]
	;; [unrolled: 1-line block ×4, first 2 shown]
	v_fma_f64 v[14:15], s[16:17], v[42:43], v[8:9]
	v_add_f64 v[44:45], v[70:71], -v[62:63]
	v_add_f64 v[40:41], v[250:251], -v[74:75]
	;; [unrolled: 1-line block ×3, first 2 shown]
	v_fmac_f64_e32 v[8:9], s[10:11], v[42:43]
	v_fmac_f64_e32 v[14:15], s[14:15], v[44:45]
	v_add_f64 v[40:41], v[40:41], v[46:47]
	v_fmac_f64_e32 v[8:9], s[8:9], v[44:45]
	v_fmac_f64_e32 v[14:15], s[12:13], v[40:41]
	;; [unrolled: 1-line block ×3, first 2 shown]
	v_add_f64 v[40:41], v[250:251], v[58:59]
	v_fmac_f64_e32 v[4:5], -0.5, v[40:41]
	v_add_f64 v[116:117], v[50:51], v[96:97]
	v_add_f64 v[96:97], v[50:51], -v[96:97]
	v_fma_f64 v[40:41], s[10:11], v[44:45], v[4:5]
	v_add_f64 v[46:47], v[74:75], -v[250:251]
	v_add_f64 v[50:51], v[66:67], -v[58:59]
	v_fmac_f64_e32 v[4:5], s[16:17], v[44:45]
	v_fmac_f64_e32 v[40:41], s[14:15], v[42:43]
	v_add_f64 v[46:47], v[46:47], v[50:51]
	v_fmac_f64_e32 v[4:5], s[8:9], v[42:43]
	v_add_f64 v[44:45], v[70:71], v[62:63]
	v_fmac_f64_e32 v[40:41], s[12:13], v[46:47]
	v_fmac_f64_e32 v[4:5], s[12:13], v[46:47]
	v_fma_f64 v[46:47], -0.5, v[44:45], v[6:7]
	v_add_f64 v[44:45], v[250:251], -v[58:59]
	v_fma_f64 v[58:59], s[10:11], v[44:45], v[46:47]
	v_add_f64 v[50:51], v[74:75], -v[66:67]
	v_add_f64 v[66:67], v[78:79], -v[70:71]
	;; [unrolled: 1-line block ×3, first 2 shown]
	v_fmac_f64_e32 v[46:47], s[16:17], v[44:45]
	v_add_f64 v[42:43], v[6:7], v[78:79]
	v_fmac_f64_e32 v[58:59], s[8:9], v[50:51]
	v_add_f64 v[66:67], v[66:67], v[74:75]
	;; [unrolled: 2-line block ×3, first 2 shown]
	v_fmac_f64_e32 v[58:59], s[12:13], v[66:67]
	v_fmac_f64_e32 v[46:47], s[12:13], v[66:67]
	v_add_f64 v[66:67], v[78:79], v[54:55]
	v_add_f64 v[42:43], v[42:43], v[62:63]
	v_fmac_f64_e32 v[6:7], -0.5, v[66:67]
	v_add_f64 v[42:43], v[42:43], v[54:55]
	v_fma_f64 v[242:243], s[16:17], v[50:51], v[6:7]
	v_add_f64 v[66:67], v[70:71], -v[78:79]
	v_add_f64 v[54:55], v[62:63], -v[54:55]
	v_fmac_f64_e32 v[6:7], s[10:11], v[50:51]
	v_fmac_f64_e32 v[242:243], s[8:9], v[44:45]
	v_add_f64 v[54:55], v[66:67], v[54:55]
	v_fmac_f64_e32 v[6:7], s[14:15], v[44:45]
	v_add_f64 v[50:51], v[68:69], v[60:61]
	v_fmac_f64_e32 v[242:243], s[12:13], v[54:55]
	v_fmac_f64_e32 v[6:7], s[12:13], v[54:55]
	v_fma_f64 v[50:51], -0.5, v[50:51], v[254:255]
	v_add_f64 v[54:55], v[72:73], -v[48:49]
	v_fma_f64 v[62:63], s[16:17], v[54:55], v[50:51]
	v_add_f64 v[66:67], v[64:65], -v[56:57]
	v_add_f64 v[70:71], v[76:77], -v[68:69]
	;; [unrolled: 1-line block ×3, first 2 shown]
	v_fmac_f64_e32 v[50:51], s[10:11], v[54:55]
	v_fmac_f64_e32 v[62:63], s[14:15], v[66:67]
	v_add_f64 v[70:71], v[70:71], v[74:75]
	v_fmac_f64_e32 v[50:51], s[8:9], v[66:67]
	v_add_f64 v[44:45], v[254:255], v[76:77]
	v_fmac_f64_e32 v[62:63], s[12:13], v[70:71]
	v_fmac_f64_e32 v[50:51], s[12:13], v[70:71]
	v_add_f64 v[70:71], v[76:77], v[52:53]
	v_add_f64 v[44:45], v[44:45], v[68:69]
	v_fmac_f64_e32 v[254:255], -0.5, v[70:71]
	v_add_f64 v[44:45], v[44:45], v[60:61]
	v_fma_f64 v[78:79], s[10:11], v[66:67], v[254:255]
	v_add_f64 v[70:71], v[68:69], -v[76:77]
	v_add_f64 v[74:75], v[60:61], -v[52:53]
	v_fmac_f64_e32 v[254:255], s[16:17], v[66:67]
	v_add_f64 v[66:67], v[64:65], v[56:57]
	v_add_f64 v[44:45], v[44:45], v[52:53]
	v_fmac_f64_e32 v[78:79], s[14:15], v[54:55]
	v_add_f64 v[70:71], v[70:71], v[74:75]
	v_fmac_f64_e32 v[254:255], s[8:9], v[54:55]
	v_fma_f64 v[66:67], -0.5, v[66:67], v[252:253]
	v_add_f64 v[52:53], v[76:77], -v[52:53]
	v_fmac_f64_e32 v[78:79], s[12:13], v[70:71]
	v_fmac_f64_e32 v[254:255], s[12:13], v[70:71]
	v_fma_f64 v[74:75], s[10:11], v[52:53], v[66:67]
	v_add_f64 v[60:61], v[68:69], -v[60:61]
	v_add_f64 v[68:69], v[72:73], -v[64:65]
	;; [unrolled: 1-line block ×3, first 2 shown]
	v_fmac_f64_e32 v[66:67], s[16:17], v[52:53]
	v_add_f64 v[54:55], v[252:253], v[72:73]
	v_fmac_f64_e32 v[74:75], s[8:9], v[60:61]
	v_add_f64 v[68:69], v[68:69], v[70:71]
	;; [unrolled: 2-line block ×3, first 2 shown]
	v_fmac_f64_e32 v[74:75], s[12:13], v[68:69]
	v_fmac_f64_e32 v[66:67], s[12:13], v[68:69]
	v_add_f64 v[68:69], v[72:73], v[48:49]
	v_add_f64 v[54:55], v[54:55], v[56:57]
	v_fmac_f64_e32 v[252:253], -0.5, v[68:69]
	v_add_f64 v[54:55], v[54:55], v[48:49]
	v_fma_f64 v[234:235], s[16:17], v[60:61], v[252:253]
	v_add_f64 v[64:65], v[64:65], -v[72:73]
	v_add_f64 v[48:49], v[56:57], -v[48:49]
	v_fmac_f64_e32 v[252:253], s[10:11], v[60:61]
	v_add_f64 v[48:49], v[64:65], v[48:49]
	v_fmac_f64_e32 v[252:253], s[14:15], v[52:53]
	v_fmac_f64_e32 v[252:253], s[12:13], v[48:49]
	;; [unrolled: 1-line block ×3, first 2 shown]
	v_mul_f64 v[244:245], v[252:253], s[20:21]
	v_fmac_f64_e32 v[234:235], s[12:13], v[48:49]
	v_mul_f64 v[52:53], v[74:75], s[14:15]
	v_mul_f64 v[238:239], v[66:67], s[14:15]
	;; [unrolled: 1-line block ×3, first 2 shown]
	v_fmac_f64_e32 v[244:245], s[10:11], v[254:255]
	v_mul_f64 v[246:247], v[66:67], s[18:19]
	v_fmac_f64_e32 v[52:53], s[22:23], v[62:63]
	v_mul_f64 v[56:57], v[234:235], s[16:17]
	v_mul_f64 v[236:237], v[252:253], s[16:17]
	v_fmac_f64_e32 v[238:239], s[18:19], v[50:51]
	v_add_f64 v[70:71], v[42:43], v[54:55]
	v_fmac_f64_e32 v[240:241], s[8:9], v[62:63]
	v_mul_f64 v[234:235], v[234:235], s[12:13]
	v_add_f64 v[62:63], v[6:7], v[244:245]
	v_fmac_f64_e32 v[246:247], s[8:9], v[50:51]
	v_add_f64 v[50:51], v[42:43], -v[54:55]
	v_add_f64 v[42:43], v[6:7], -v[244:245]
	v_add_f64 v[6:7], v[38:39], v[30:31]
	v_add_f64 v[68:69], v[10:11], v[44:45]
	v_fmac_f64_e32 v[56:57], s[12:13], v[78:79]
	v_fmac_f64_e32 v[236:237], s[20:21], v[254:255]
	v_add_f64 v[64:65], v[8:9], v[238:239]
	v_fmac_f64_e32 v[234:235], s[10:11], v[78:79]
	v_add_f64 v[48:49], v[10:11], -v[44:45]
	v_add_f64 v[44:45], v[8:9], -v[238:239]
	v_fma_f64 v[6:7], -0.5, v[6:7], v[0:1]
	v_add_f64 v[8:9], v[126:127], -v[18:19]
	v_add_f64 v[72:73], v[14:15], v[52:53]
	v_add_f64 v[76:77], v[40:41], v[56:57]
	;; [unrolled: 1-line block ×5, first 2 shown]
	v_add_f64 v[52:53], v[14:15], -v[52:53]
	v_add_f64 v[56:57], v[40:41], -v[56:57]
	;; [unrolled: 1-line block ×5, first 2 shown]
	v_fma_f64 v[10:11], s[16:17], v[8:9], v[6:7]
	v_add_f64 v[14:15], v[34:35], -v[26:27]
	v_add_f64 v[234:235], v[128:129], -v[38:39]
	;; [unrolled: 1-line block ×3, first 2 shown]
	v_fmac_f64_e32 v[6:7], s[10:11], v[8:9]
	v_fmac_f64_e32 v[10:11], s[14:15], v[14:15]
	v_add_f64 v[234:235], v[234:235], v[236:237]
	v_fmac_f64_e32 v[6:7], s[8:9], v[14:15]
	v_fmac_f64_e32 v[10:11], s[12:13], v[234:235]
	;; [unrolled: 1-line block ×3, first 2 shown]
	v_add_f64 v[234:235], v[128:129], v[22:23]
	v_add_f64 v[4:5], v[0:1], v[128:129]
	v_fmac_f64_e32 v[0:1], -0.5, v[234:235]
	v_fma_f64 v[248:249], s[10:11], v[14:15], v[0:1]
	v_fmac_f64_e32 v[0:1], s[16:17], v[14:15]
	v_fmac_f64_e32 v[248:249], s[14:15], v[8:9]
	;; [unrolled: 1-line block ×3, first 2 shown]
	v_add_f64 v[8:9], v[2:3], v[126:127]
	v_add_f64 v[8:9], v[8:9], v[34:35]
	v_add_f64 v[8:9], v[8:9], v[26:27]
	v_add_f64 v[4:5], v[4:5], v[38:39]
	v_add_f64 v[14:15], v[8:9], v[18:19]
	v_add_f64 v[8:9], v[34:35], v[26:27]
	v_add_f64 v[66:67], v[46:47], v[246:247]
	v_add_f64 v[46:47], v[46:47], -v[246:247]
	v_add_f64 v[4:5], v[4:5], v[30:31]
	v_fma_f64 v[246:247], -0.5, v[8:9], v[2:3]
	v_add_f64 v[8:9], v[128:129], -v[22:23]
	v_add_f64 v[4:5], v[4:5], v[22:23]
	v_add_f64 v[234:235], v[38:39], -v[128:129]
	v_add_f64 v[236:237], v[30:31], -v[22:23]
	v_fma_f64 v[128:129], s[10:11], v[8:9], v[246:247]
	v_add_f64 v[22:23], v[38:39], -v[30:31]
	v_add_f64 v[30:31], v[126:127], -v[34:35]
	;; [unrolled: 1-line block ×3, first 2 shown]
	v_fmac_f64_e32 v[246:247], s[16:17], v[8:9]
	v_fmac_f64_e32 v[128:129], s[8:9], v[22:23]
	v_add_f64 v[30:31], v[30:31], v[38:39]
	v_fmac_f64_e32 v[246:247], s[14:15], v[22:23]
	v_fmac_f64_e32 v[128:129], s[12:13], v[30:31]
	;; [unrolled: 1-line block ×3, first 2 shown]
	v_add_f64 v[30:31], v[126:127], v[18:19]
	v_fmac_f64_e32 v[2:3], -0.5, v[30:31]
	v_fma_f64 v[242:243], s[16:17], v[22:23], v[2:3]
	v_add_f64 v[30:31], v[34:35], -v[126:127]
	v_add_f64 v[18:19], v[26:27], -v[18:19]
	v_fmac_f64_e32 v[2:3], s[10:11], v[22:23]
	v_fmac_f64_e32 v[242:243], s[8:9], v[8:9]
	v_add_f64 v[18:19], v[30:31], v[18:19]
	v_fmac_f64_e32 v[2:3], s[14:15], v[8:9]
	v_fmac_f64_e32 v[242:243], s[12:13], v[18:19]
	v_fmac_f64_e32 v[2:3], s[12:13], v[18:19]
	v_add_f64 v[18:19], v[32:33], v[24:25]
	v_fma_f64 v[18:19], -0.5, v[18:19], v[120:121]
	v_add_f64 v[22:23], v[36:37], -v[12:13]
	v_fma_f64 v[26:27], s[16:17], v[22:23], v[18:19]
	v_add_f64 v[30:31], v[28:29], -v[20:21]
	v_add_f64 v[34:35], v[124:125], -v[32:33]
	;; [unrolled: 1-line block ×3, first 2 shown]
	v_fmac_f64_e32 v[18:19], s[10:11], v[22:23]
	v_fmac_f64_e32 v[26:27], s[14:15], v[30:31]
	v_add_f64 v[34:35], v[34:35], v[38:39]
	v_fmac_f64_e32 v[18:19], s[8:9], v[30:31]
	v_fmac_f64_e32 v[26:27], s[12:13], v[34:35]
	;; [unrolled: 1-line block ×3, first 2 shown]
	v_add_f64 v[34:35], v[124:125], v[16:17]
	v_add_f64 v[8:9], v[120:121], v[124:125]
	v_fmac_f64_e32 v[120:121], -0.5, v[34:35]
	v_fma_f64 v[38:39], s[10:11], v[30:31], v[120:121]
	v_fmac_f64_e32 v[120:121], s[16:17], v[30:31]
	v_fmac_f64_e32 v[38:39], s[14:15], v[22:23]
	;; [unrolled: 1-line block ×3, first 2 shown]
	v_add_f64 v[22:23], v[122:123], v[36:37]
	v_add_f64 v[22:23], v[22:23], v[28:29]
	;; [unrolled: 1-line block ×3, first 2 shown]
	v_add_f64 v[34:35], v[32:33], -v[124:125]
	v_add_f64 v[126:127], v[24:25], -v[16:17]
	v_add_f64 v[22:23], v[22:23], v[20:21]
	v_add_f64 v[234:235], v[234:235], v[236:237]
	;; [unrolled: 1-line block ×6, first 2 shown]
	v_fmac_f64_e32 v[248:249], s[12:13], v[234:235]
	v_fmac_f64_e32 v[0:1], s[12:13], v[234:235]
	v_add_f64 v[8:9], v[8:9], v[16:17]
	v_fma_f64 v[234:235], -0.5, v[22:23], v[122:123]
	v_add_f64 v[16:17], v[124:125], -v[16:17]
	v_fma_f64 v[22:23], s[10:11], v[16:17], v[234:235]
	v_add_f64 v[24:25], v[32:33], -v[24:25]
	v_add_f64 v[30:31], v[36:37], -v[28:29]
	;; [unrolled: 1-line block ×3, first 2 shown]
	v_fmac_f64_e32 v[234:235], s[16:17], v[16:17]
	v_fmac_f64_e32 v[22:23], s[8:9], v[24:25]
	v_add_f64 v[30:31], v[30:31], v[32:33]
	v_fmac_f64_e32 v[234:235], s[14:15], v[24:25]
	v_fmac_f64_e32 v[22:23], s[12:13], v[30:31]
	;; [unrolled: 1-line block ×3, first 2 shown]
	v_add_f64 v[30:31], v[36:37], v[12:13]
	v_fmac_f64_e32 v[122:123], -0.5, v[30:31]
	v_fma_f64 v[124:125], s[16:17], v[24:25], v[122:123]
	v_add_f64 v[28:29], v[28:29], -v[36:37]
	v_add_f64 v[12:13], v[20:21], -v[12:13]
	v_fmac_f64_e32 v[122:123], s[10:11], v[24:25]
	v_fmac_f64_e32 v[124:125], s[8:9], v[16:17]
	v_add_f64 v[12:13], v[28:29], v[12:13]
	v_fmac_f64_e32 v[122:123], s[14:15], v[16:17]
	v_fmac_f64_e32 v[124:125], s[12:13], v[12:13]
	;; [unrolled: 1-line block ×5, first 2 shown]
	v_mul_f64 v[12:13], v[22:23], s[14:15]
	v_mul_f64 v[16:17], v[124:125], s[16:17]
	;; [unrolled: 1-line block ×5, first 2 shown]
	v_fmac_f64_e32 v[12:13], s[22:23], v[26:27]
	v_fmac_f64_e32 v[236:237], s[20:21], v[120:121]
	v_mul_f64 v[238:239], v[234:235], s[14:15]
	v_mul_f64 v[240:241], v[22:23], s[22:23]
	v_fmac_f64_e32 v[124:125], s[10:11], v[38:39]
	v_fmac_f64_e32 v[122:123], s[10:11], v[120:121]
	v_mul_f64 v[120:121], v[234:235], s[18:19]
	v_add_f64 v[32:33], v[10:11], v[12:13]
	v_fmac_f64_e32 v[16:17], s[12:13], v[38:39]
	v_fmac_f64_e32 v[238:239], s[18:19], v[18:19]
	v_add_f64 v[30:31], v[14:15], v[126:127]
	v_fmac_f64_e32 v[240:241], s[8:9], v[26:27]
	v_add_f64 v[38:39], v[242:243], v[124:125]
	v_fmac_f64_e32 v[120:121], s[8:9], v[18:19]
	v_add_f64 v[12:13], v[10:11], -v[12:13]
	v_add_f64 v[10:11], v[14:15], -v[126:127]
	;; [unrolled: 1-line block ×3, first 2 shown]
	v_accvgpr_read_b32 v124, a242
	v_add_f64 v[28:29], v[4:5], v[8:9]
	v_add_f64 v[36:37], v[248:249], v[16:17]
	;; [unrolled: 1-line block ×7, first 2 shown]
	v_add_f64 v[8:9], v[4:5], -v[8:9]
	v_add_f64 v[16:17], v[248:249], -v[16:17]
	;; [unrolled: 1-line block ×7, first 2 shown]
	v_accvgpr_read_b32 v126, a244
	v_accvgpr_read_b32 v127, a245
	ds_write_b128 v133, v[108:111]
	ds_write_b128 v133, v[112:115] offset:48
	ds_write_b128 v133, v[116:119] offset:96
	ds_write_b128 v133, v[100:103] offset:144
	ds_write_b128 v133, v[104:107] offset:192
	ds_write_b128 v133, v[88:91] offset:240
	ds_write_b128 v133, v[92:95] offset:288
	ds_write_b128 v133, v[96:99] offset:336
	ds_write_b128 v133, v[80:83] offset:384
	ds_write_b128 v133, v[84:87] offset:432
	ds_write_b128 v135, v[68:71]
	ds_write_b128 v135, v[72:75] offset:48
	ds_write_b128 v135, v[76:79] offset:96
	ds_write_b128 v135, v[60:63] offset:144
	ds_write_b128 v135, v[64:67] offset:192
	ds_write_b128 v135, v[48:51] offset:240
	ds_write_b128 v135, v[52:55] offset:288
	ds_write_b128 v135, v[56:59] offset:336
	ds_write_b128 v135, v[40:43] offset:384
	ds_write_b128 v135, v[44:47] offset:432
	;; [unrolled: 10-line block ×3, first 2 shown]
	s_waitcnt lgkmcnt(0)
	s_barrier
	ds_read_b128 v[36:39], v232
	ds_read_b128 v[116:119], v232 offset:4320
	ds_read_b128 v[112:115], v232 offset:8640
	;; [unrolled: 1-line block ×29, first 2 shown]
	v_accvgpr_read_b32 v125, a243
	s_waitcnt lgkmcnt(14)
	v_mul_f64 v[122:123], v[126:127], v[118:119]
	v_fmac_f64_e32 v[122:123], v[124:125], v[116:117]
	v_mul_f64 v[116:117], v[126:127], v[116:117]
	v_fma_f64 v[124:125], v[124:125], v[118:119], -v[116:117]
	v_accvgpr_read_b32 v116, a246
	v_accvgpr_read_b32 v118, a248
	v_accvgpr_read_b32 v119, a249
	v_accvgpr_read_b32 v117, a247
	v_mul_f64 v[240:241], v[118:119], v[114:115]
	v_fmac_f64_e32 v[240:241], v[116:117], v[112:113]
	v_mul_f64 v[112:113], v[118:119], v[112:113]
	v_fma_f64 v[242:243], v[116:117], v[114:115], -v[112:113]
	v_accvgpr_read_b32 v112, a250
	v_accvgpr_read_b32 v114, a252
	v_accvgpr_read_b32 v115, a253
	v_accvgpr_read_b32 v113, a251
	;; [unrolled: 8-line block ×8, first 2 shown]
	v_mul_f64 v[244:245], v[90:91], v[82:83]
	v_fmac_f64_e32 v[244:245], v[88:89], v[80:81]
	v_mul_f64 v[80:81], v[90:91], v[80:81]
	v_fma_f64 v[248:249], v[88:89], v[82:83], -v[80:81]
	v_mul_f64 v[80:81], v[198:199], v[84:85]
	v_fma_f64 v[118:119], v[196:197], v[86:87], -v[80:81]
	v_accvgpr_read_b32 v83, a75
	v_accvgpr_read_b32 v82, a74
	v_accvgpr_read_b32 v81, a73
	v_accvgpr_read_b32 v80, a72
	v_mul_f64 v[120:121], v[82:83], v[78:79]
	v_fmac_f64_e32 v[120:121], v[80:81], v[76:77]
	v_mul_f64 v[76:77], v[82:83], v[76:77]
	v_fma_f64 v[78:79], v[80:81], v[78:79], -v[76:77]
	v_accvgpr_read_b32 v83, a79
	v_accvgpr_read_b32 v82, a78
	v_accvgpr_read_b32 v81, a77
	v_accvgpr_read_b32 v80, a76
	v_mul_f64 v[76:77], v[82:83], v[74:75]
	v_fmac_f64_e32 v[76:77], v[80:81], v[72:73]
	;; [unrolled: 8-line block ×4, first 2 shown]
	v_mul_f64 v[64:65], v[82:83], v[64:65]
	v_fma_f64 v[64:65], v[80:81], v[66:67], -v[64:65]
	v_accvgpr_read_b32 v80, a104
	v_accvgpr_read_b32 v82, a106
	v_accvgpr_read_b32 v83, a107
	v_accvgpr_read_b32 v81, a105
	s_waitcnt lgkmcnt(13)
	v_mul_f64 v[66:67], v[82:83], v[62:63]
	v_fmac_f64_e32 v[66:67], v[80:81], v[60:61]
	v_mul_f64 v[60:61], v[82:83], v[60:61]
	v_fma_f64 v[62:63], v[80:81], v[62:63], -v[60:61]
	v_accvgpr_read_b32 v80, a116
	v_accvgpr_read_b32 v82, a118
	v_accvgpr_read_b32 v83, a119
	v_accvgpr_read_b32 v81, a117
	s_waitcnt lgkmcnt(12)
	v_mul_f64 v[60:61], v[82:83], v[58:59]
	v_fmac_f64_e32 v[60:61], v[80:81], v[56:57]
	v_mul_f64 v[56:57], v[82:83], v[56:57]
	v_fma_f64 v[56:57], v[80:81], v[58:59], -v[56:57]
	v_accvgpr_read_b32 v80, a144
	v_accvgpr_read_b32 v82, a146
	v_accvgpr_read_b32 v83, a147
	v_accvgpr_read_b32 v81, a145
	s_waitcnt lgkmcnt(11)
	v_mul_f64 v[58:59], v[82:83], v[54:55]
	v_fmac_f64_e32 v[58:59], v[80:81], v[52:53]
	v_mul_f64 v[52:53], v[82:83], v[52:53]
	v_fma_f64 v[54:55], v[80:81], v[54:55], -v[52:53]
	v_accvgpr_read_b32 v80, a152
	v_accvgpr_read_b32 v82, a154
	v_accvgpr_read_b32 v83, a155
	v_accvgpr_read_b32 v81, a153
	s_waitcnt lgkmcnt(10)
	v_mul_f64 v[52:53], v[82:83], v[50:51]
	v_fmac_f64_e32 v[52:53], v[80:81], v[48:49]
	v_mul_f64 v[48:49], v[82:83], v[48:49]
	v_fma_f64 v[48:49], v[80:81], v[50:51], -v[48:49]
	v_accvgpr_read_b32 v80, a96
	v_accvgpr_read_b32 v82, a98
	v_accvgpr_read_b32 v83, a99
	v_accvgpr_read_b32 v81, a97
	s_waitcnt lgkmcnt(8)
	v_mul_f64 v[94:95], v[82:83], v[46:47]
	v_fmac_f64_e32 v[94:95], v[80:81], v[44:45]
	v_mul_f64 v[44:45], v[82:83], v[44:45]
	v_fma_f64 v[98:99], v[80:81], v[46:47], -v[44:45]
	v_accvgpr_read_b32 v44, a112
	v_accvgpr_read_b32 v46, a114
	v_accvgpr_read_b32 v47, a115
	v_accvgpr_read_b32 v45, a113
	s_waitcnt lgkmcnt(7)
	v_mul_f64 v[108:109], v[46:47], v[42:43]
	v_fmac_f64_e32 v[108:109], v[44:45], v[40:41]
	v_mul_f64 v[40:41], v[46:47], v[40:41]
	v_fma_f64 v[100:101], v[44:45], v[42:43], -v[40:41]
	v_accvgpr_read_b32 v40, a120
	v_accvgpr_read_b32 v42, a122
	v_accvgpr_read_b32 v43, a123
	v_accvgpr_read_b32 v41, a121
	s_waitcnt lgkmcnt(6)
	v_mul_f64 v[88:89], v[42:43], v[34:35]
	v_fmac_f64_e32 v[88:89], v[40:41], v[32:33]
	v_mul_f64 v[32:33], v[42:43], v[32:33]
	v_fma_f64 v[80:81], v[40:41], v[34:35], -v[32:33]
	v_accvgpr_read_b32 v32, a132
	v_accvgpr_read_b32 v34, a134
	v_accvgpr_read_b32 v35, a135
	v_accvgpr_read_b32 v33, a133
	s_waitcnt lgkmcnt(5)
	v_mul_f64 v[110:111], v[34:35], v[30:31]
	v_fmac_f64_e32 v[110:111], v[32:33], v[28:29]
	v_mul_f64 v[28:29], v[34:35], v[28:29]
	v_fma_f64 v[102:103], v[32:33], v[30:31], -v[28:29]
	v_accvgpr_read_b32 v28, a124
	v_accvgpr_read_b32 v30, a126
	v_accvgpr_read_b32 v31, a127
	v_accvgpr_read_b32 v29, a125
	s_waitcnt lgkmcnt(4)
	v_mul_f64 v[90:91], v[30:31], v[26:27]
	v_fmac_f64_e32 v[90:91], v[28:29], v[24:25]
	v_mul_f64 v[24:25], v[30:31], v[24:25]
	v_fma_f64 v[82:83], v[28:29], v[26:27], -v[24:25]
	v_accvgpr_read_b32 v24, a136
	v_accvgpr_read_b32 v26, a138
	v_accvgpr_read_b32 v27, a139
	v_accvgpr_read_b32 v25, a137
	s_waitcnt lgkmcnt(3)
	v_mul_f64 v[112:113], v[26:27], v[22:23]
	v_fmac_f64_e32 v[112:113], v[24:25], v[20:21]
	v_mul_f64 v[20:21], v[26:27], v[20:21]
	v_fma_f64 v[20:21], v[24:25], v[22:23], -v[20:21]
	v_accvgpr_read_b32 v22, a140
	v_accvgpr_read_b32 v24, a142
	;; [unrolled: 1-line block ×4, first 2 shown]
	s_waitcnt lgkmcnt(2)
	v_mul_f64 v[92:93], v[24:25], v[18:19]
	v_mul_f64 v[116:117], v[198:199], v[86:87]
	v_fmac_f64_e32 v[92:93], v[22:23], v[16:17]
	v_mul_f64 v[16:17], v[24:25], v[16:17]
	v_fmac_f64_e32 v[116:117], v[196:197], v[84:85]
	v_fma_f64 v[84:85], v[22:23], v[18:19], -v[16:17]
	v_accvgpr_read_b32 v16, a148
	v_accvgpr_read_b32 v18, a150
	;; [unrolled: 1-line block ×4, first 2 shown]
	s_waitcnt lgkmcnt(1)
	v_mul_f64 v[114:115], v[18:19], v[14:15]
	v_fmac_f64_e32 v[114:115], v[16:17], v[12:13]
	v_mul_f64 v[12:13], v[18:19], v[12:13]
	v_fma_f64 v[14:15], v[16:17], v[14:15], -v[12:13]
	v_accvgpr_read_b32 v16, a156
	v_accvgpr_read_b32 v18, a158
	;; [unrolled: 1-line block ×4, first 2 shown]
	s_waitcnt lgkmcnt(0)
	v_mul_f64 v[12:13], v[18:19], v[10:11]
	v_fmac_f64_e32 v[12:13], v[16:17], v[8:9]
	v_mul_f64 v[8:9], v[18:19], v[8:9]
	v_fma_f64 v[86:87], v[16:17], v[10:11], -v[8:9]
	v_add_f64 v[8:9], v[36:37], v[240:241]
	v_add_f64 v[8:9], v[8:9], v[238:239]
	;; [unrolled: 1-line block ×5, first 2 shown]
	v_fma_f64 v[30:31], -0.5, v[8:9], v[36:37]
	v_add_f64 v[8:9], v[242:243], -v[106:107]
	v_fma_f64 v[32:33], s[16:17], v[8:9], v[30:31]
	v_add_f64 v[10:11], v[104:105], -v[96:97]
	v_add_f64 v[16:17], v[240:241], -v[238:239]
	v_add_f64 v[18:19], v[234:235], -v[236:237]
	v_fmac_f64_e32 v[30:31], s[10:11], v[8:9]
	v_fmac_f64_e32 v[32:33], s[14:15], v[10:11]
	v_add_f64 v[16:17], v[16:17], v[18:19]
	v_fmac_f64_e32 v[30:31], s[8:9], v[10:11]
	v_fmac_f64_e32 v[32:33], s[12:13], v[16:17]
	v_fmac_f64_e32 v[30:31], s[12:13], v[16:17]
	v_add_f64 v[16:17], v[240:241], v[234:235]
	v_fmac_f64_e32 v[36:37], -0.5, v[16:17]
	v_fma_f64 v[40:41], s[10:11], v[10:11], v[36:37]
	v_fmac_f64_e32 v[36:37], s[16:17], v[10:11]
	v_fmac_f64_e32 v[40:41], s[14:15], v[8:9]
	v_fmac_f64_e32 v[36:37], s[8:9], v[8:9]
	v_add_f64 v[8:9], v[38:39], v[242:243]
	v_add_f64 v[8:9], v[8:9], v[104:105]
	v_add_f64 v[8:9], v[8:9], v[96:97]
	v_add_f64 v[16:17], v[238:239], -v[240:241]
	v_add_f64 v[18:19], v[236:237], -v[234:235]
	v_add_f64 v[34:35], v[8:9], v[106:107]
	v_add_f64 v[8:9], v[104:105], v[96:97]
	v_add_f64 v[16:17], v[16:17], v[18:19]
	v_fma_f64 v[44:45], -0.5, v[8:9], v[38:39]
	v_add_f64 v[8:9], v[240:241], -v[234:235]
	v_fmac_f64_e32 v[40:41], s[12:13], v[16:17]
	v_fmac_f64_e32 v[36:37], s[12:13], v[16:17]
	v_fma_f64 v[42:43], s[10:11], v[8:9], v[44:45]
	v_add_f64 v[10:11], v[238:239], -v[236:237]
	v_add_f64 v[16:17], v[242:243], -v[104:105]
	v_add_f64 v[18:19], v[106:107], -v[96:97]
	v_fmac_f64_e32 v[44:45], s[16:17], v[8:9]
	v_fmac_f64_e32 v[42:43], s[8:9], v[10:11]
	v_add_f64 v[16:17], v[16:17], v[18:19]
	v_fmac_f64_e32 v[44:45], s[14:15], v[10:11]
	v_fmac_f64_e32 v[42:43], s[12:13], v[16:17]
	v_fmac_f64_e32 v[44:45], s[12:13], v[16:17]
	v_add_f64 v[16:17], v[242:243], v[106:107]
	v_fmac_f64_e32 v[38:39], -0.5, v[16:17]
	v_fma_f64 v[46:47], s[16:17], v[10:11], v[38:39]
	v_fmac_f64_e32 v[38:39], s[10:11], v[10:11]
	v_fmac_f64_e32 v[46:47], s[8:9], v[8:9]
	v_fmac_f64_e32 v[38:39], s[14:15], v[8:9]
	v_add_f64 v[8:9], v[122:123], v[250:251]
	v_add_f64 v[8:9], v[8:9], v[252:253]
	v_add_f64 v[8:9], v[8:9], v[254:255]
	v_add_f64 v[16:17], v[104:105], -v[242:243]
	v_add_f64 v[18:19], v[96:97], -v[106:107]
	v_add_f64 v[50:51], v[8:9], v[244:245]
	v_add_f64 v[8:9], v[252:253], v[254:255]
	v_add_f64 v[16:17], v[16:17], v[18:19]
	v_fma_f64 v[22:23], -0.5, v[8:9], v[122:123]
	v_add_f64 v[8:9], v[126:127], -v[248:249]
	v_fmac_f64_e32 v[46:47], s[12:13], v[16:17]
	v_fmac_f64_e32 v[38:39], s[12:13], v[16:17]
	;; [unrolled: 28-line block ×3, first 2 shown]
	v_fma_f64 v[106:107], s[10:11], v[8:9], v[104:105]
	v_add_f64 v[16:17], v[252:253], -v[254:255]
	v_add_f64 v[18:19], v[126:127], -v[128:129]
	;; [unrolled: 1-line block ×3, first 2 shown]
	v_fmac_f64_e32 v[104:105], s[16:17], v[8:9]
	v_fmac_f64_e32 v[106:107], s[8:9], v[16:17]
	v_add_f64 v[18:19], v[18:19], v[24:25]
	v_fmac_f64_e32 v[104:105], s[14:15], v[16:17]
	v_fmac_f64_e32 v[106:107], s[12:13], v[18:19]
	;; [unrolled: 1-line block ×3, first 2 shown]
	v_add_f64 v[18:19], v[126:127], v[248:249]
	v_fmac_f64_e32 v[124:125], -0.5, v[18:19]
	v_fma_f64 v[134:135], s[16:17], v[16:17], v[124:125]
	v_add_f64 v[18:19], v[128:129], -v[126:127]
	v_add_f64 v[24:25], v[246:247], -v[248:249]
	v_fmac_f64_e32 v[124:125], s[10:11], v[16:17]
	v_fmac_f64_e32 v[134:135], s[8:9], v[8:9]
	v_add_f64 v[18:19], v[18:19], v[24:25]
	v_fmac_f64_e32 v[124:125], s[14:15], v[8:9]
	v_mul_f64 v[234:235], v[104:105], s[14:15]
	v_mul_f64 v[104:105], v[104:105], s[18:19]
	v_fmac_f64_e32 v[134:135], s[12:13], v[18:19]
	v_fmac_f64_e32 v[124:125], s[12:13], v[18:19]
	;; [unrolled: 1-line block ×4, first 2 shown]
	v_add_f64 v[22:23], v[4:5], v[120:121]
	v_mul_f64 v[126:127], v[106:107], s[14:15]
	v_mul_f64 v[128:129], v[134:135], s[16:17]
	;; [unrolled: 1-line block ×5, first 2 shown]
	v_add_f64 v[22:23], v[22:23], v[74:75]
	v_fmac_f64_e32 v[128:129], s[12:13], v[26:27]
	v_fmac_f64_e32 v[198:199], s[20:21], v[122:123]
	;; [unrolled: 1-line block ×3, first 2 shown]
	v_mul_f64 v[134:135], v[134:135], s[12:13]
	v_fmac_f64_e32 v[124:125], s[10:11], v[122:123]
	v_add_f64 v[22:23], v[22:23], v[66:67]
	v_add_f64 v[16:17], v[28:29], v[50:51]
	;; [unrolled: 1-line block ×6, first 2 shown]
	v_fmac_f64_e32 v[134:135], s[10:11], v[26:27]
	v_add_f64 v[26:27], v[38:39], v[124:125]
	v_add_f64 v[196:197], v[28:29], -v[50:51]
	v_add_f64 v[28:29], v[40:41], -v[128:129]
	;; [unrolled: 1-line block ×6, first 2 shown]
	v_add_f64 v[124:125], v[22:23], v[58:59]
	v_add_f64 v[22:23], v[74:75], v[66:67]
	v_fmac_f64_e32 v[126:127], s[22:23], v[10:11]
	v_fma_f64 v[122:123], -0.5, v[22:23], v[4:5]
	v_add_f64 v[22:23], v[78:79], -v[54:55]
	v_add_f64 v[250:251], v[32:33], v[126:127]
	v_add_f64 v[242:243], v[30:31], v[234:235]
	;; [unrolled: 1-line block ×4, first 2 shown]
	v_add_f64 v[32:33], v[32:33], -v[126:127]
	v_add_f64 v[36:37], v[30:31], -v[234:235]
	;; [unrolled: 1-line block ×4, first 2 shown]
	v_fma_f64 v[126:127], s[16:17], v[22:23], v[122:123]
	v_add_f64 v[44:45], v[70:71], -v[62:63]
	v_add_f64 v[46:47], v[120:121], -v[74:75]
	v_add_f64 v[50:51], v[58:59], -v[66:67]
	v_fmac_f64_e32 v[122:123], s[10:11], v[22:23]
	v_fmac_f64_e32 v[126:127], s[14:15], v[44:45]
	v_add_f64 v[46:47], v[46:47], v[50:51]
	v_fmac_f64_e32 v[122:123], s[8:9], v[44:45]
	v_fmac_f64_e32 v[126:127], s[12:13], v[46:47]
	v_fmac_f64_e32 v[122:123], s[12:13], v[46:47]
	v_add_f64 v[46:47], v[120:121], v[58:59]
	v_fmac_f64_e32 v[4:5], -0.5, v[46:47]
	v_fma_f64 v[248:249], s[10:11], v[44:45], v[4:5]
	v_fmac_f64_e32 v[4:5], s[16:17], v[44:45]
	v_fmac_f64_e32 v[248:249], s[14:15], v[22:23]
	v_fmac_f64_e32 v[4:5], s[8:9], v[22:23]
	v_add_f64 v[22:23], v[6:7], v[78:79]
	v_add_f64 v[22:23], v[22:23], v[70:71]
	v_add_f64 v[22:23], v[22:23], v[62:63]
	v_add_f64 v[46:47], v[74:75], -v[120:121]
	v_add_f64 v[50:51], v[66:67], -v[58:59]
	v_add_f64 v[128:129], v[22:23], v[54:55]
	v_add_f64 v[22:23], v[70:71], v[62:63]
	v_add_f64 v[46:47], v[46:47], v[50:51]
	v_fma_f64 v[246:247], -0.5, v[22:23], v[6:7]
	v_add_f64 v[22:23], v[120:121], -v[58:59]
	v_fmac_f64_e32 v[248:249], s[12:13], v[46:47]
	v_fmac_f64_e32 v[4:5], s[12:13], v[46:47]
	v_fma_f64 v[120:121], s[10:11], v[22:23], v[246:247]
	v_add_f64 v[44:45], v[74:75], -v[66:67]
	v_add_f64 v[46:47], v[78:79], -v[70:71]
	v_add_f64 v[50:51], v[54:55], -v[62:63]
	v_fmac_f64_e32 v[246:247], s[16:17], v[22:23]
	v_fmac_f64_e32 v[120:121], s[8:9], v[44:45]
	v_add_f64 v[46:47], v[46:47], v[50:51]
	v_fmac_f64_e32 v[246:247], s[14:15], v[44:45]
	v_fmac_f64_e32 v[120:121], s[12:13], v[46:47]
	v_fmac_f64_e32 v[246:247], s[12:13], v[46:47]
	v_add_f64 v[46:47], v[78:79], v[54:55]
	v_fmac_f64_e32 v[6:7], -0.5, v[46:47]
	v_fma_f64 v[66:67], s[16:17], v[44:45], v[6:7]
	v_fmac_f64_e32 v[6:7], s[10:11], v[44:45]
	v_fmac_f64_e32 v[66:67], s[8:9], v[22:23]
	v_fmac_f64_e32 v[6:7], s[14:15], v[22:23]
	v_add_f64 v[22:23], v[116:117], v[76:77]
	v_add_f64 v[22:23], v[22:23], v[68:69]
	v_add_f64 v[22:23], v[22:23], v[60:61]
	v_add_f64 v[46:47], v[70:71], -v[78:79]
	v_add_f64 v[50:51], v[62:63], -v[54:55]
	v_add_f64 v[70:71], v[22:23], v[52:53]
	v_add_f64 v[22:23], v[68:69], v[60:61]
	v_add_f64 v[46:47], v[46:47], v[50:51]
	v_fma_f64 v[22:23], -0.5, v[22:23], v[116:117]
	v_add_f64 v[44:45], v[72:73], -v[48:49]
	v_fmac_f64_e32 v[66:67], s[12:13], v[46:47]
	v_fmac_f64_e32 v[6:7], s[12:13], v[46:47]
	;; [unrolled: 28-line block ×3, first 2 shown]
	v_fma_f64 v[50:51], s[10:11], v[44:45], v[78:79]
	v_add_f64 v[52:53], v[68:69], -v[60:61]
	v_add_f64 v[54:55], v[72:73], -v[64:65]
	;; [unrolled: 1-line block ×3, first 2 shown]
	v_fmac_f64_e32 v[78:79], s[16:17], v[44:45]
	v_fmac_f64_e32 v[50:51], s[8:9], v[52:53]
	v_add_f64 v[54:55], v[54:55], v[60:61]
	v_fmac_f64_e32 v[78:79], s[14:15], v[52:53]
	v_fmac_f64_e32 v[50:51], s[12:13], v[54:55]
	;; [unrolled: 1-line block ×3, first 2 shown]
	v_add_f64 v[54:55], v[72:73], v[48:49]
	v_fmac_f64_e32 v[118:119], -0.5, v[54:55]
	v_fma_f64 v[62:63], s[16:17], v[52:53], v[118:119]
	v_add_f64 v[54:55], v[64:65], -v[72:73]
	v_add_f64 v[48:49], v[56:57], -v[48:49]
	v_fmac_f64_e32 v[118:119], s[10:11], v[52:53]
	v_add_f64 v[48:49], v[54:55], v[48:49]
	v_fmac_f64_e32 v[118:119], s[14:15], v[44:45]
	v_fmac_f64_e32 v[118:119], s[12:13], v[48:49]
	v_mul_f64 v[96:97], v[118:119], s[16:17]
	v_mul_f64 v[118:119], v[118:119], s[20:21]
	v_fmac_f64_e32 v[96:97], s[20:21], v[116:117]
	v_mul_f64 v[104:105], v[78:79], s[14:15]
	v_fmac_f64_e32 v[118:119], s[10:11], v[116:117]
	;; [unrolled: 2-line block ×3, first 2 shown]
	v_fmac_f64_e32 v[116:117], s[8:9], v[22:23]
	v_add_f64 v[22:23], v[0:1], v[108:109]
	v_fmac_f64_e32 v[62:63], s[8:9], v[44:45]
	v_add_f64 v[22:23], v[22:23], v[110:111]
	;; [unrolled: 2-line block ×3, first 2 shown]
	v_mul_f64 v[64:65], v[50:51], s[14:15]
	v_mul_f64 v[76:77], v[62:63], s[16:17]
	;; [unrolled: 1-line block ×4, first 2 shown]
	v_add_f64 v[62:63], v[6:7], v[118:119]
	v_add_f64 v[78:79], v[6:7], -v[118:119]
	v_add_f64 v[118:119], v[22:23], v[114:115]
	v_add_f64 v[22:23], v[110:111], v[112:113]
	v_fmac_f64_e32 v[64:65], s[22:23], v[46:47]
	v_fmac_f64_e32 v[76:77], s[12:13], v[58:59]
	;; [unrolled: 1-line block ×4, first 2 shown]
	v_add_f64 v[58:59], v[246:247], v[116:117]
	v_add_f64 v[6:7], v[246:247], -v[116:117]
	v_fma_f64 v[116:117], -0.5, v[22:23], v[0:1]
	v_add_f64 v[22:23], v[100:101], -v[14:15]
	v_add_f64 v[52:53], v[124:125], v[70:71]
	v_add_f64 v[48:49], v[126:127], v[64:65]
	;; [unrolled: 1-line block ×6, first 2 shown]
	v_add_f64 v[72:73], v[124:125], -v[70:71]
	v_add_f64 v[68:69], v[126:127], -v[64:65]
	;; [unrolled: 1-line block ×6, first 2 shown]
	v_fma_f64 v[120:121], s[16:17], v[22:23], v[116:117]
	v_add_f64 v[96:97], v[102:103], -v[20:21]
	v_add_f64 v[104:105], v[108:109], -v[110:111]
	;; [unrolled: 1-line block ×3, first 2 shown]
	v_fmac_f64_e32 v[116:117], s[10:11], v[22:23]
	v_fmac_f64_e32 v[120:121], s[14:15], v[96:97]
	v_add_f64 v[104:105], v[104:105], v[106:107]
	v_fmac_f64_e32 v[116:117], s[8:9], v[96:97]
	v_fmac_f64_e32 v[120:121], s[12:13], v[104:105]
	;; [unrolled: 1-line block ×3, first 2 shown]
	v_add_f64 v[104:105], v[108:109], v[114:115]
	v_fmac_f64_e32 v[0:1], -0.5, v[104:105]
	v_fma_f64 v[126:127], s[10:11], v[96:97], v[0:1]
	v_fmac_f64_e32 v[0:1], s[16:17], v[96:97]
	v_fmac_f64_e32 v[126:127], s[14:15], v[22:23]
	;; [unrolled: 1-line block ×3, first 2 shown]
	v_add_f64 v[22:23], v[2:3], v[100:101]
	v_add_f64 v[22:23], v[22:23], v[102:103]
	;; [unrolled: 1-line block ×3, first 2 shown]
	v_add_f64 v[104:105], v[110:111], -v[108:109]
	v_add_f64 v[106:107], v[112:113], -v[114:115]
	v_add_f64 v[122:123], v[22:23], v[14:15]
	v_add_f64 v[22:23], v[102:103], v[20:21]
	;; [unrolled: 1-line block ×3, first 2 shown]
	v_fma_f64 v[124:125], -0.5, v[22:23], v[2:3]
	v_add_f64 v[22:23], v[108:109], -v[114:115]
	v_fmac_f64_e32 v[126:127], s[12:13], v[104:105]
	v_fmac_f64_e32 v[0:1], s[12:13], v[104:105]
	v_fma_f64 v[114:115], s[10:11], v[22:23], v[124:125]
	v_add_f64 v[96:97], v[110:111], -v[112:113]
	v_add_f64 v[104:105], v[100:101], -v[102:103]
	;; [unrolled: 1-line block ×3, first 2 shown]
	v_fmac_f64_e32 v[124:125], s[16:17], v[22:23]
	v_fmac_f64_e32 v[114:115], s[8:9], v[96:97]
	v_add_f64 v[104:105], v[104:105], v[106:107]
	v_fmac_f64_e32 v[124:125], s[14:15], v[96:97]
	v_fmac_f64_e32 v[114:115], s[12:13], v[104:105]
	;; [unrolled: 1-line block ×3, first 2 shown]
	v_add_f64 v[104:105], v[100:101], v[14:15]
	v_fmac_f64_e32 v[2:3], -0.5, v[104:105]
	v_add_f64 v[54:55], v[128:129], v[74:75]
	v_add_f64 v[74:75], v[128:129], -v[74:75]
	v_fma_f64 v[128:129], s[16:17], v[96:97], v[2:3]
	v_add_f64 v[100:101], v[102:103], -v[100:101]
	v_add_f64 v[14:15], v[20:21], -v[14:15]
	v_fmac_f64_e32 v[2:3], s[10:11], v[96:97]
	v_fmac_f64_e32 v[128:129], s[8:9], v[22:23]
	v_add_f64 v[14:15], v[100:101], v[14:15]
	v_fmac_f64_e32 v[2:3], s[14:15], v[22:23]
	v_fmac_f64_e32 v[128:129], s[12:13], v[14:15]
	;; [unrolled: 1-line block ×3, first 2 shown]
	v_add_f64 v[14:15], v[94:95], v[88:89]
	v_add_f64 v[14:15], v[14:15], v[90:91]
	v_add_f64 v[14:15], v[14:15], v[92:93]
	v_add_f64 v[100:101], v[14:15], v[12:13]
	v_add_f64 v[14:15], v[90:91], v[92:93]
	v_fma_f64 v[20:21], -0.5, v[14:15], v[94:95]
	v_add_f64 v[14:15], v[80:81], -v[86:87]
	v_fma_f64 v[22:23], s[16:17], v[14:15], v[20:21]
	v_add_f64 v[96:97], v[82:83], -v[84:85]
	v_add_f64 v[102:103], v[88:89], -v[90:91]
	;; [unrolled: 1-line block ×3, first 2 shown]
	v_fmac_f64_e32 v[20:21], s[10:11], v[14:15]
	v_fmac_f64_e32 v[22:23], s[14:15], v[96:97]
	v_add_f64 v[102:103], v[102:103], v[104:105]
	v_fmac_f64_e32 v[20:21], s[8:9], v[96:97]
	v_fmac_f64_e32 v[22:23], s[12:13], v[102:103]
	;; [unrolled: 1-line block ×3, first 2 shown]
	v_add_f64 v[102:103], v[88:89], v[12:13]
	v_fmac_f64_e32 v[94:95], -0.5, v[102:103]
	v_fma_f64 v[102:103], s[10:11], v[96:97], v[94:95]
	v_add_f64 v[104:105], v[90:91], -v[88:89]
	v_add_f64 v[106:107], v[92:93], -v[12:13]
	v_fmac_f64_e32 v[94:95], s[16:17], v[96:97]
	v_fmac_f64_e32 v[102:103], s[14:15], v[14:15]
	v_add_f64 v[104:105], v[104:105], v[106:107]
	v_fmac_f64_e32 v[94:95], s[8:9], v[14:15]
	v_add_f64 v[96:97], v[82:83], v[84:85]
	v_fmac_f64_e32 v[102:103], s[12:13], v[104:105]
	v_fmac_f64_e32 v[94:95], s[12:13], v[104:105]
	v_fma_f64 v[104:105], -0.5, v[96:97], v[98:99]
	v_add_f64 v[12:13], v[88:89], -v[12:13]
	v_fma_f64 v[106:107], s[10:11], v[12:13], v[104:105]
	v_add_f64 v[88:89], v[90:91], -v[92:93]
	v_add_f64 v[90:91], v[80:81], -v[82:83]
	;; [unrolled: 1-line block ×3, first 2 shown]
	v_fmac_f64_e32 v[104:105], s[16:17], v[12:13]
	v_fmac_f64_e32 v[106:107], s[8:9], v[88:89]
	v_add_f64 v[90:91], v[90:91], v[92:93]
	v_fmac_f64_e32 v[104:105], s[14:15], v[88:89]
	v_fmac_f64_e32 v[106:107], s[12:13], v[90:91]
	;; [unrolled: 1-line block ×3, first 2 shown]
	v_add_f64 v[90:91], v[80:81], v[86:87]
	v_add_f64 v[14:15], v[98:99], v[80:81]
	v_fmac_f64_e32 v[98:99], -0.5, v[90:91]
	v_add_f64 v[14:15], v[14:15], v[82:83]
	v_fma_f64 v[108:109], s[16:17], v[88:89], v[98:99]
	v_add_f64 v[80:81], v[82:83], -v[80:81]
	v_add_f64 v[82:83], v[84:85], -v[86:87]
	v_fmac_f64_e32 v[98:99], s[10:11], v[88:89]
	v_fmac_f64_e32 v[108:109], s[8:9], v[12:13]
	v_add_f64 v[80:81], v[80:81], v[82:83]
	v_fmac_f64_e32 v[98:99], s[14:15], v[12:13]
	v_fmac_f64_e32 v[108:109], s[12:13], v[80:81]
	v_fmac_f64_e32 v[98:99], s[12:13], v[80:81]
	v_add_f64 v[14:15], v[14:15], v[84:85]
	v_mul_f64 v[12:13], v[106:107], s[14:15]
	v_mul_f64 v[110:111], v[108:109], s[16:17]
	;; [unrolled: 1-line block ×5, first 2 shown]
	v_add_f64 v[46:47], v[66:67], v[134:135]
	v_add_f64 v[66:67], v[66:67], -v[134:135]
	v_add_f64 v[14:15], v[14:15], v[86:87]
	v_fmac_f64_e32 v[12:13], s[22:23], v[22:23]
	v_fmac_f64_e32 v[110:111], s[12:13], v[102:103]
	v_mul_f64 v[112:113], v[98:99], s[16:17]
	v_mul_f64 v[134:135], v[104:105], s[14:15]
	v_fmac_f64_e32 v[106:107], s[8:9], v[22:23]
	v_mul_f64 v[22:23], v[108:109], s[12:13]
	v_fmac_f64_e32 v[234:235], s[10:11], v[94:95]
	v_fmac_f64_e32 v[236:237], s[8:9], v[20:21]
	v_add_f64 v[88:89], v[118:119], v[100:101]
	v_add_f64 v[80:81], v[126:127], v[110:111]
	v_fmac_f64_e32 v[112:113], s[20:21], v[94:95]
	v_fmac_f64_e32 v[134:135], s[18:19], v[20:21]
	v_add_f64 v[90:91], v[122:123], v[14:15]
	v_add_f64 v[86:87], v[114:115], v[106:107]
	v_fmac_f64_e32 v[22:23], s[10:11], v[102:103]
	v_add_f64 v[98:99], v[2:3], v[234:235]
	v_add_f64 v[94:95], v[124:125], v[236:237]
	v_add_f64 v[108:109], v[118:119], -v[100:101]
	v_add_f64 v[100:101], v[126:127], -v[110:111]
	;; [unrolled: 1-line block ×6, first 2 shown]
	v_accvgpr_read_b32 v125, a71
	v_add_f64 v[84:85], v[120:121], v[12:13]
	v_add_f64 v[96:97], v[0:1], v[112:113]
	;; [unrolled: 1-line block ×4, first 2 shown]
	v_add_f64 v[104:105], v[120:121], -v[12:13]
	v_add_f64 v[112:113], v[0:1], -v[112:113]
	;; [unrolled: 1-line block ×4, first 2 shown]
	v_accvgpr_read_b32 v124, a70
	s_barrier
	ds_write_b128 v205, v[16:19]
	ds_write_b128 v205, v[250:253] offset:480
	ds_write_b128 v205, v[8:11] offset:960
	ds_write_b128 v205, v[24:27] offset:1440
	ds_write_b128 v205, v[242:245] offset:1920
	ds_write_b128 v205, v[196:199] offset:2400
	ds_write_b128 v205, v[32:35] offset:2880
	ds_write_b128 v205, v[28:31] offset:3360
	ds_write_b128 v205, v[40:43] offset:3840
	ds_write_b128 v205, v[36:39] offset:4320
	ds_write_b128 v231, v[52:55]
	ds_write_b128 v231, v[48:51] offset:480
	ds_write_b128 v231, v[44:47] offset:960
	ds_write_b128 v231, v[60:63] offset:1440
	ds_write_b128 v231, v[56:59] offset:1920
	ds_write_b128 v231, v[72:75] offset:2400
	ds_write_b128 v231, v[68:71] offset:2880
	ds_write_b128 v231, v[64:67] offset:3360
	ds_write_b128 v231, v[76:79] offset:3840
	ds_write_b128 v231, v[4:7] offset:4320
	;; [unrolled: 10-line block ×3, first 2 shown]
	s_waitcnt lgkmcnt(0)
	s_barrier
	ds_read_b128 v[36:39], v232
	ds_read_b128 v[116:119], v232 offset:14400
	ds_read_b128 v[112:115], v232 offset:28800
	;; [unrolled: 1-line block ×29, first 2 shown]
	v_accvgpr_read_b32 v123, a69
	v_accvgpr_read_b32 v122, a68
	s_waitcnt lgkmcnt(14)
	v_mul_f64 v[120:121], v[124:125], v[118:119]
	v_fmac_f64_e32 v[120:121], v[122:123], v[116:117]
	v_mul_f64 v[116:117], v[124:125], v[116:117]
	v_fma_f64 v[122:123], v[122:123], v[118:119], -v[116:117]
	v_accvgpr_read_b32 v119, a67
	v_accvgpr_read_b32 v118, a66
	v_accvgpr_read_b32 v117, a65
	v_accvgpr_read_b32 v116, a64
	v_mul_f64 v[124:125], v[118:119], v[114:115]
	v_fmac_f64_e32 v[124:125], v[116:117], v[112:113]
	v_mul_f64 v[112:113], v[118:119], v[112:113]
	v_fma_f64 v[112:113], v[116:117], v[114:115], -v[112:113]
	v_accvgpr_read_b32 v117, a59
	v_accvgpr_read_b32 v116, a58
	v_accvgpr_read_b32 v115, a57
	v_accvgpr_read_b32 v114, a56
	;; [unrolled: 8-line block ×10, first 2 shown]
	s_waitcnt lgkmcnt(13)
	v_mul_f64 v[246:247], v[86:87], v[78:79]
	v_fmac_f64_e32 v[246:247], v[84:85], v[76:77]
	v_mul_f64 v[76:77], v[86:87], v[76:77]
	v_fma_f64 v[248:249], v[84:85], v[78:79], -v[76:77]
	v_accvgpr_read_b32 v79, a27
	v_accvgpr_read_b32 v78, a26
	v_accvgpr_read_b32 v77, a25
	v_accvgpr_read_b32 v76, a24
	s_waitcnt lgkmcnt(12)
	v_mul_f64 v[250:251], v[78:79], v[74:75]
	v_fmac_f64_e32 v[250:251], v[76:77], v[72:73]
	v_mul_f64 v[72:73], v[78:79], v[72:73]
	v_fma_f64 v[74:75], v[76:77], v[74:75], -v[72:73]
	v_accvgpr_read_b32 v79, a23
	v_accvgpr_read_b32 v78, a22
	v_accvgpr_read_b32 v77, a21
	v_accvgpr_read_b32 v76, a20
	;; [unrolled: 9-line block ×3, first 2 shown]
	s_waitcnt lgkmcnt(9)
	v_mul_f64 v[68:69], v[72:73], v[66:67]
	v_accvgpr_read_b32 v79, a15
	v_fmac_f64_e32 v[68:69], v[70:71], v[64:65]
	v_mul_f64 v[64:65], v[72:73], v[64:65]
	v_accvgpr_read_b32 v78, a14
	v_fma_f64 v[66:67], v[70:71], v[66:67], -v[64:65]
	v_accvgpr_read_b32 v77, a13
	v_accvgpr_read_b32 v76, a12
	s_waitcnt lgkmcnt(7)
	v_mul_f64 v[70:71], v[78:79], v[58:59]
	v_fmac_f64_e32 v[70:71], v[76:77], v[56:57]
	v_mul_f64 v[56:57], v[78:79], v[56:57]
	v_fma_f64 v[58:59], v[76:77], v[58:59], -v[56:57]
	v_accvgpr_read_b32 v79, a11
	v_accvgpr_read_b32 v78, a10
	v_accvgpr_read_b32 v77, a9
	v_accvgpr_read_b32 v76, a8
	s_waitcnt lgkmcnt(6)
	v_mul_f64 v[56:57], v[78:79], v[50:51]
	v_fmac_f64_e32 v[56:57], v[76:77], v[48:49]
	v_mul_f64 v[48:49], v[78:79], v[48:49]
	v_fma_f64 v[48:49], v[76:77], v[50:51], -v[48:49]
	v_accvgpr_read_b32 v79, a7
	v_accvgpr_read_b32 v78, a6
	;; [unrolled: 9-line block ×3, first 2 shown]
	v_accvgpr_read_b32 v77, a1
	v_accvgpr_read_b32 v76, a0
	s_waitcnt lgkmcnt(3)
	v_mul_f64 v[46:47], v[78:79], v[42:43]
	v_fmac_f64_e32 v[46:47], v[76:77], v[40:41]
	v_mul_f64 v[40:41], v[78:79], v[40:41]
	v_fma_f64 v[40:41], v[76:77], v[42:43], -v[40:41]
	s_waitcnt lgkmcnt(1)
	v_mul_f64 v[42:43], v[224:225], v[62:63]
	v_fmac_f64_e32 v[42:43], v[222:223], v[60:61]
	v_mul_f64 v[60:61], v[224:225], v[60:61]
	s_waitcnt lgkmcnt(0)
	v_mul_f64 v[224:225], v[228:229], v[54:55]
	v_fmac_f64_e32 v[224:225], v[226:227], v[52:53]
	v_mul_f64 v[52:53], v[228:229], v[52:53]
	v_fma_f64 v[226:227], v[226:227], v[54:55], -v[52:53]
	v_add_f64 v[52:53], v[36:37], v[120:121]
	v_add_f64 v[116:117], v[52:53], v[124:125]
	v_add_f64 v[52:53], v[120:121], v[124:125]
	v_fmac_f64_e32 v[36:37], -0.5, v[52:53]
	v_add_f64 v[52:53], v[122:123], -v[112:113]
	v_fma_f64 v[108:109], s[4:5], v[52:53], v[36:37]
	v_fmac_f64_e32 v[36:37], s[2:3], v[52:53]
	v_add_f64 v[52:53], v[38:39], v[122:123]
	v_add_f64 v[118:119], v[52:53], v[112:113]
	v_add_f64 v[52:53], v[122:123], v[112:113]
	v_fmac_f64_e32 v[38:39], -0.5, v[52:53]
	v_add_f64 v[52:53], v[120:121], -v[124:125]
	v_fma_f64 v[110:111], s[2:3], v[52:53], v[38:39]
	v_fmac_f64_e32 v[38:39], s[4:5], v[52:53]
	;; [unrolled: 7-line block ×14, first 2 shown]
	v_add_f64 v[52:53], v[4:5], v[70:71]
	v_fma_f64 v[222:223], v[222:223], v[62:63], -v[60:61]
	v_add_f64 v[60:61], v[52:53], v[56:57]
	v_add_f64 v[52:53], v[70:71], v[56:57]
	v_fmac_f64_e32 v[4:5], -0.5, v[52:53]
	v_add_f64 v[52:53], v[58:59], -v[48:49]
	v_fma_f64 v[68:69], s[4:5], v[52:53], v[4:5]
	v_fmac_f64_e32 v[4:5], s[2:3], v[52:53]
	v_add_f64 v[52:53], v[6:7], v[58:59]
	v_add_f64 v[62:63], v[52:53], v[48:49]
	v_add_f64 v[48:49], v[58:59], v[48:49]
	v_fmac_f64_e32 v[6:7], -0.5, v[48:49]
	v_add_f64 v[48:49], v[70:71], -v[56:57]
	v_fma_f64 v[70:71], s[2:3], v[48:49], v[6:7]
	v_fmac_f64_e32 v[6:7], s[4:5], v[48:49]
	v_add_f64 v[48:49], v[0:1], v[50:51]
	;; [unrolled: 7-line block ×4, first 2 shown]
	v_add_f64 v[44:45], v[40:41], v[224:225]
	v_add_f64 v[40:41], v[42:43], v[224:225]
	s_barrier
	ds_write_b128 v232, v[116:119]
	ds_write_b128 v232, v[108:111] offset:4800
	ds_write_b128 v232, v[36:39] offset:9600
	;; [unrolled: 1-line block ×8, first 2 shown]
	v_accvgpr_read_b32 v28, a168
	v_fmac_f64_e32 v[8:9], -0.5, v[40:41]
	v_add_f64 v[46:47], v[222:223], -v[226:227]
	v_add_f64 v[56:57], v[222:223], v[226:227]
	ds_write_b128 v28, v[92:95]
	ds_write_b128 v28, v[88:91] offset:4800
	ds_write_b128 v28, v[24:27] offset:9600
	;; [unrolled: 1-line block ×8, first 2 shown]
	v_accvgpr_read_b32 v16, a255
	v_fma_f64 v[40:41], s[4:5], v[46:47], v[8:9]
	v_fmac_f64_e32 v[8:9], s[2:3], v[46:47]
	v_add_f64 v[46:47], v[10:11], v[222:223]
	v_fmac_f64_e32 v[10:11], -0.5, v[56:57]
	v_add_f64 v[56:57], v[42:43], -v[224:225]
	ds_write_b128 v16, v[120:123]
	ds_write_b128 v16, v[64:67] offset:4800
	ds_write_b128 v16, v[12:15] offset:9600
	v_accvgpr_read_b32 v12, a254
	v_add_f64 v[46:47], v[46:47], v[226:227]
	v_fma_f64 v[42:43], s[2:3], v[56:57], v[10:11]
	v_fmac_f64_e32 v[10:11], s[4:5], v[56:57]
	ds_write_b128 v12, v[60:63] offset:28800
	ds_write_b128 v12, v[68:71] offset:33600
	;; [unrolled: 1-line block ×3, first 2 shown]
	v_accvgpr_read_b32 v4, a169
	ds_write_b128 v4, v[52:55] offset:28800
	ds_write_b128 v4, v[48:51] offset:33600
	;; [unrolled: 1-line block ×6, first 2 shown]
	s_waitcnt lgkmcnt(0)
	s_barrier
	ds_read_b128 v[20:23], v232
	ds_read_b128 v[96:99], v232 offset:14400
	ds_read_b128 v[84:87], v232 offset:28800
	;; [unrolled: 1-line block ×29, first 2 shown]
	s_waitcnt lgkmcnt(14)
	v_mul_f64 v[126:127], v[216:217], v[98:99]
	v_fmac_f64_e32 v[126:127], v[214:215], v[96:97]
	v_mul_f64 v[96:97], v[216:217], v[96:97]
	v_mul_f64 v[196:197], v[212:213], v[90:91]
	v_fma_f64 v[128:129], v[214:215], v[98:99], -v[96:97]
	v_mul_f64 v[96:97], v[208:209], v[104:105]
	v_fmac_f64_e32 v[196:197], v[210:211], v[88:89]
	v_mul_f64 v[88:89], v[212:213], v[88:89]
	v_fma_f64 v[134:135], v[206:207], v[106:107], -v[96:97]
	v_fma_f64 v[88:89], v[210:211], v[90:91], -v[88:89]
	v_mul_f64 v[90:91], v[190:191], v[118:119]
	v_mul_f64 v[96:97], v[190:191], v[116:117]
	v_fmac_f64_e32 v[90:91], v[188:189], v[116:117]
	v_fma_f64 v[188:189], v[188:189], v[118:119], -v[96:97]
	v_mul_f64 v[190:191], v[194:195], v[114:115]
	v_mul_f64 v[96:97], v[194:195], v[112:113]
	s_waitcnt lgkmcnt(3)
	v_mul_f64 v[116:117], v[146:147], v[42:43]
	v_fmac_f64_e32 v[190:191], v[192:193], v[112:113]
	v_fma_f64 v[192:193], v[192:193], v[114:115], -v[96:97]
	v_mul_f64 v[194:195], v[182:183], v[110:111]
	v_mul_f64 v[96:97], v[182:183], v[108:109]
	v_fmac_f64_e32 v[116:117], v[144:145], v[40:41]
	v_mul_f64 v[40:41], v[146:147], v[40:41]
	v_mul_f64 v[132:133], v[220:221], v[86:87]
	v_fmac_f64_e32 v[194:195], v[180:181], v[108:109]
	v_fma_f64 v[180:181], v[180:181], v[110:111], -v[96:97]
	v_mul_f64 v[182:183], v[186:187], v[102:103]
	v_mul_f64 v[96:97], v[186:187], v[100:101]
	v_fma_f64 v[118:119], v[144:145], v[42:43], -v[40:41]
	s_waitcnt lgkmcnt(1)
	v_mul_f64 v[40:41], v[202:203], v[56:57]
	v_fmac_f64_e32 v[132:133], v[218:219], v[84:85]
	v_mul_f64 v[84:85], v[220:221], v[84:85]
	v_fmac_f64_e32 v[182:183], v[184:185], v[100:101]
	v_fma_f64 v[100:101], v[184:185], v[102:103], -v[96:97]
	v_mul_f64 v[102:103], v[150:151], v[62:63]
	v_fma_f64 v[120:121], v[200:201], v[58:59], -v[40:41]
	s_waitcnt lgkmcnt(0)
	v_mul_f64 v[40:41], v[138:139], v[44:45]
	v_fma_f64 v[84:85], v[218:219], v[86:87], -v[84:85]
	v_mul_f64 v[86:87], v[208:209], v[106:107]
	v_fmac_f64_e32 v[102:103], v[148:149], v[60:61]
	v_mul_f64 v[60:61], v[150:151], v[60:61]
	v_fma_f64 v[124:125], v[136:137], v[46:47], -v[40:41]
	v_add_f64 v[40:41], v[20:21], v[126:127]
	v_fmac_f64_e32 v[86:87], v[206:207], v[104:105]
	v_fma_f64 v[104:105], v[148:149], v[62:63], -v[60:61]
	v_mul_f64 v[106:107], v[142:143], v[50:51]
	v_add_f64 v[60:61], v[40:41], v[132:133]
	v_add_f64 v[40:41], v[126:127], v[132:133]
	v_fmac_f64_e32 v[106:107], v[140:141], v[48:49]
	v_mul_f64 v[48:49], v[142:143], v[48:49]
	v_fmac_f64_e32 v[20:21], -0.5, v[40:41]
	v_add_f64 v[40:41], v[128:129], -v[84:85]
	v_fma_f64 v[112:113], v[140:141], v[50:51], -v[48:49]
	v_fma_f64 v[48:49], s[4:5], v[40:41], v[20:21]
	v_fmac_f64_e32 v[20:21], s[2:3], v[40:41]
	v_add_f64 v[40:41], v[22:23], v[128:129]
	v_add_f64 v[62:63], v[40:41], v[84:85]
	;; [unrolled: 1-line block ×3, first 2 shown]
	v_mul_f64 v[184:185], v[174:175], v[94:95]
	v_mul_f64 v[108:109], v[154:155], v[54:55]
	v_fmac_f64_e32 v[22:23], -0.5, v[40:41]
	v_add_f64 v[40:41], v[126:127], -v[132:133]
	v_add_f64 v[42:43], v[86:87], v[196:197]
	v_fmac_f64_e32 v[184:185], v[172:173], v[92:93]
	v_mul_f64 v[92:93], v[174:175], v[92:93]
	v_fmac_f64_e32 v[108:109], v[152:153], v[52:53]
	v_mul_f64 v[52:53], v[154:155], v[52:53]
	v_mul_f64 v[122:123], v[138:139], v[46:47]
	v_fma_f64 v[50:51], s[2:3], v[40:41], v[22:23]
	v_fmac_f64_e32 v[22:23], s[4:5], v[40:41]
	v_add_f64 v[40:41], v[28:29], v[86:87]
	v_fmac_f64_e32 v[28:29], -0.5, v[42:43]
	v_add_f64 v[42:43], v[134:135], -v[88:89]
	v_add_f64 v[46:47], v[134:135], v[88:89]
	v_fma_f64 v[92:93], v[172:173], v[94:95], -v[92:93]
	v_mul_f64 v[94:95], v[158:159], v[70:71]
	v_mul_f64 v[98:99], v[162:163], v[66:67]
	v_fma_f64 v[110:111], v[152:153], v[54:55], -v[52:53]
	v_fmac_f64_e32 v[122:123], v[136:137], v[44:45]
	v_fma_f64 v[44:45], s[4:5], v[42:43], v[28:29]
	v_fmac_f64_e32 v[28:29], s[2:3], v[42:43]
	v_add_f64 v[42:43], v[30:31], v[134:135]
	v_fmac_f64_e32 v[30:31], -0.5, v[46:47]
	v_add_f64 v[52:53], v[86:87], -v[196:197]
	v_add_f64 v[54:55], v[90:91], v[190:191]
	v_mul_f64 v[174:175], v[166:167], v[78:79]
	v_fmac_f64_e32 v[94:95], v[156:157], v[68:69]
	v_mul_f64 v[68:69], v[158:159], v[68:69]
	v_fmac_f64_e32 v[98:99], v[160:161], v[64:65]
	v_mul_f64 v[64:65], v[162:163], v[64:65]
	v_mul_f64 v[114:115], v[202:203], v[58:59]
	v_fma_f64 v[46:47], s[2:3], v[52:53], v[30:31]
	v_fmac_f64_e32 v[30:31], s[4:5], v[52:53]
	v_add_f64 v[52:53], v[36:37], v[90:91]
	v_fmac_f64_e32 v[36:37], -0.5, v[54:55]
	v_add_f64 v[54:55], v[188:189], -v[192:193]
	v_add_f64 v[58:59], v[188:189], v[192:193]
	v_mul_f64 v[172:173], v[178:179], v[82:83]
	v_fmac_f64_e32 v[174:175], v[164:165], v[76:77]
	v_mul_f64 v[76:77], v[166:167], v[76:77]
	v_mul_f64 v[166:167], v[170:171], v[74:75]
	v_fma_f64 v[96:97], v[156:157], v[70:71], -v[68:69]
	v_fma_f64 v[156:157], v[160:161], v[66:67], -v[64:65]
	v_fmac_f64_e32 v[114:115], v[200:201], v[56:57]
	v_fma_f64 v[56:57], s[4:5], v[54:55], v[36:37]
	v_fmac_f64_e32 v[36:37], s[2:3], v[54:55]
	v_add_f64 v[54:55], v[38:39], v[188:189]
	v_fmac_f64_e32 v[38:39], -0.5, v[58:59]
	v_add_f64 v[64:65], v[90:91], -v[190:191]
	v_add_f64 v[66:67], v[194:195], v[182:183]
	v_fmac_f64_e32 v[172:173], v[176:177], v[80:81]
	v_mul_f64 v[80:81], v[178:179], v[80:81]
	v_fmac_f64_e32 v[166:167], v[168:169], v[72:73]
	v_mul_f64 v[72:73], v[170:171], v[72:73]
	v_fma_f64 v[58:59], s[2:3], v[64:65], v[38:39]
	v_fmac_f64_e32 v[38:39], s[4:5], v[64:65]
	v_add_f64 v[64:65], v[32:33], v[194:195]
	v_fmac_f64_e32 v[32:33], -0.5, v[66:67]
	v_add_f64 v[66:67], v[180:181], -v[100:101]
	v_add_f64 v[70:71], v[180:181], v[100:101]
	v_fma_f64 v[80:81], v[176:177], v[82:83], -v[80:81]
	v_fma_f64 v[168:169], v[168:169], v[74:75], -v[72:73]
	v_fma_f64 v[68:69], s[4:5], v[66:67], v[32:33]
	v_fmac_f64_e32 v[32:33], s[2:3], v[66:67]
	v_add_f64 v[66:67], v[34:35], v[180:181]
	v_fmac_f64_e32 v[34:35], -0.5, v[70:71]
	v_add_f64 v[72:73], v[194:195], -v[182:183]
	v_add_f64 v[74:75], v[184:185], v[172:173]
	v_fma_f64 v[70:71], s[2:3], v[72:73], v[34:35]
	v_fmac_f64_e32 v[34:35], s[4:5], v[72:73]
	v_add_f64 v[72:73], v[24:25], v[184:185]
	v_fmac_f64_e32 v[24:25], -0.5, v[74:75]
	v_add_f64 v[74:75], v[92:93], -v[80:81]
	v_fma_f64 v[164:165], v[164:165], v[78:79], -v[76:77]
	v_fma_f64 v[76:77], s[4:5], v[74:75], v[24:25]
	v_fmac_f64_e32 v[24:25], s[2:3], v[74:75]
	v_add_f64 v[74:75], v[26:27], v[92:93]
	v_add_f64 v[78:79], v[92:93], v[80:81]
	;; [unrolled: 1-line block ×3, first 2 shown]
	v_fmac_f64_e32 v[26:27], -0.5, v[78:79]
	v_add_f64 v[80:81], v[184:185], -v[172:173]
	v_add_f64 v[82:83], v[174:175], v[166:167]
	v_fma_f64 v[78:79], s[2:3], v[80:81], v[26:27]
	v_fmac_f64_e32 v[26:27], s[4:5], v[80:81]
	v_add_f64 v[80:81], v[16:17], v[174:175]
	v_fmac_f64_e32 v[16:17], -0.5, v[82:83]
	v_add_f64 v[82:83], v[164:165], -v[168:169]
	v_add_f64 v[86:87], v[164:165], v[168:169]
	v_add_f64 v[42:43], v[42:43], v[88:89]
	v_fma_f64 v[84:85], s[4:5], v[82:83], v[16:17]
	v_fmac_f64_e32 v[16:17], s[2:3], v[82:83]
	v_add_f64 v[82:83], v[18:19], v[164:165]
	v_fmac_f64_e32 v[18:19], -0.5, v[86:87]
	v_add_f64 v[88:89], v[174:175], -v[166:167]
	v_add_f64 v[90:91], v[94:95], v[98:99]
	v_fma_f64 v[86:87], s[2:3], v[88:89], v[18:19]
	v_fmac_f64_e32 v[18:19], s[4:5], v[88:89]
	v_add_f64 v[88:89], v[12:13], v[94:95]
	v_fmac_f64_e32 v[12:13], -0.5, v[90:91]
	v_add_f64 v[90:91], v[96:97], -v[156:157]
	v_fma_f64 v[92:93], s[4:5], v[90:91], v[12:13]
	v_fmac_f64_e32 v[12:13], s[2:3], v[90:91]
	v_add_f64 v[90:91], v[14:15], v[96:97]
	v_add_f64 v[96:97], v[96:97], v[156:157]
	;; [unrolled: 1-line block ×3, first 2 shown]
	v_fmac_f64_e32 v[14:15], -0.5, v[96:97]
	v_add_f64 v[96:97], v[94:95], -v[98:99]
	v_add_f64 v[98:99], v[102:103], v[108:109]
	v_fma_f64 v[94:95], s[2:3], v[96:97], v[14:15]
	v_fmac_f64_e32 v[14:15], s[4:5], v[96:97]
	v_add_f64 v[96:97], v[8:9], v[102:103]
	v_fmac_f64_e32 v[8:9], -0.5, v[98:99]
	v_add_f64 v[98:99], v[104:105], -v[110:111]
	v_add_f64 v[66:67], v[66:67], v[100:101]
	v_fma_f64 v[100:101], s[4:5], v[98:99], v[8:9]
	v_fmac_f64_e32 v[8:9], s[2:3], v[98:99]
	v_add_f64 v[98:99], v[10:11], v[104:105]
	v_add_f64 v[104:105], v[104:105], v[110:111]
	v_fmac_f64_e32 v[10:11], -0.5, v[104:105]
	v_add_f64 v[104:105], v[102:103], -v[108:109]
	v_fma_f64 v[102:103], s[2:3], v[104:105], v[10:11]
	v_fmac_f64_e32 v[10:11], s[4:5], v[104:105]
	v_add_f64 v[104:105], v[0:1], v[106:107]
	v_add_f64 v[96:97], v[96:97], v[108:109]
	v_add_f64 v[108:109], v[104:105], v[116:117]
	v_add_f64 v[104:105], v[106:107], v[116:117]
	v_add_f64 v[98:99], v[98:99], v[110:111]
	v_fmac_f64_e32 v[0:1], -0.5, v[104:105]
	v_add_f64 v[110:111], v[112:113], -v[118:119]
	v_fma_f64 v[104:105], s[4:5], v[110:111], v[0:1]
	v_fmac_f64_e32 v[0:1], s[2:3], v[110:111]
	v_add_f64 v[110:111], v[2:3], v[112:113]
	v_add_f64 v[112:113], v[112:113], v[118:119]
	v_fmac_f64_e32 v[2:3], -0.5, v[112:113]
	v_add_f64 v[112:113], v[106:107], -v[116:117]
	v_fma_f64 v[106:107], s[2:3], v[112:113], v[2:3]
	v_fmac_f64_e32 v[2:3], s[4:5], v[112:113]
	v_add_f64 v[112:113], v[4:5], v[114:115]
	v_add_f64 v[116:117], v[112:113], v[122:123]
	v_add_f64 v[112:113], v[114:115], v[122:123]
	v_add_f64 v[110:111], v[110:111], v[118:119]
	v_fmac_f64_e32 v[4:5], -0.5, v[112:113]
	v_add_f64 v[118:119], v[120:121], -v[124:125]
	v_fma_f64 v[112:113], s[4:5], v[118:119], v[4:5]
	v_fmac_f64_e32 v[4:5], s[2:3], v[118:119]
	v_add_f64 v[118:119], v[6:7], v[120:121]
	v_add_f64 v[120:121], v[120:121], v[124:125]
	v_fmac_f64_e32 v[6:7], -0.5, v[120:121]
	v_add_f64 v[120:121], v[114:115], -v[122:123]
	v_fma_f64 v[114:115], s[2:3], v[120:121], v[6:7]
	v_fmac_f64_e32 v[6:7], s[4:5], v[120:121]
	v_add_f64 v[40:41], v[40:41], v[196:197]
	v_add_f64 v[52:53], v[52:53], v[190:191]
	;; [unrolled: 1-line block ×9, first 2 shown]
	ds_write_b128 v232, v[60:63]
	ds_write_b128 v232, v[48:51] offset:14400
	ds_write_b128 v232, v[20:23] offset:28800
	;; [unrolled: 1-line block ×29, first 2 shown]
	s_waitcnt lgkmcnt(0)
	s_barrier
	scratch_load_dwordx4 v[6:9], off, off offset:40 ; 16-byte Folded Reload
	ds_read_b128 v[0:3], v232
	s_mov_b32 s2, 0xa0ce5129
	s_mov_b32 s3, 0x3f3845c8
	s_waitcnt vmcnt(0) lgkmcnt(0)
	v_mul_f64 v[4:5], v[8:9], v[2:3]
	v_fmac_f64_e32 v[4:5], v[6:7], v[0:1]
	v_mul_f64 v[0:1], v[8:9], v[0:1]
	v_fma_f64 v[0:1], v[6:7], v[2:3], -v[0:1]
	v_mul_f64 v[6:7], v[0:1], s[2:3]
	v_mad_u64_u32 v[0:1], s[4:5], s0, v130, 0
	v_mov_b32_e32 v2, v1
	v_mad_u64_u32 v[2:3], s[4:5], s1, v130, v[2:3]
	v_mov_b32_e32 v1, v2
	scratch_load_dwordx2 v[2:3], off, off offset:616 ; 8-byte Folded Reload
	scratch_load_dwordx2 v[8:9], off, off offset:656 ; 8-byte Folded Reload
	scratch_load_dwordx4 v[10:13], off, off offset:72 ; 16-byte Folded Reload
	v_mul_f64 v[4:5], v[4:5], s[2:3]
	s_waitcnt vmcnt(1)
	v_lshl_add_u64 v[2:3], v[8:9], 4, v[2:3]
	v_lshl_add_u64 v[8:9], v[0:1], 4, v[2:3]
	ds_read_b128 v[0:3], v232 offset:14400
	global_store_dwordx4 v[8:9], v[4:7], off
	v_mad_u64_u32 v[8:9], s[4:5], s0, v204, v[8:9]
	s_mul_i32 s4, s1, 0x3840
	s_waitcnt vmcnt(1) lgkmcnt(0)
	v_mul_f64 v[4:5], v[12:13], v[2:3]
	v_fmac_f64_e32 v[4:5], v[10:11], v[0:1]
	v_mul_f64 v[0:1], v[12:13], v[0:1]
	v_fma_f64 v[0:1], v[10:11], v[2:3], -v[0:1]
	scratch_load_dwordx4 v[10:13], off, off offset:88 ; 16-byte Folded Reload
	v_mul_f64 v[6:7], v[0:1], s[2:3]
	ds_read_b128 v[0:3], v232 offset:28800
	v_mul_f64 v[4:5], v[4:5], s[2:3]
	v_add_u32_e32 v9, s4, v9
	global_store_dwordx4 v[8:9], v[4:7], off
	v_mad_u64_u32 v[8:9], s[6:7], s0, v204, v[8:9]
	v_add_u32_e32 v9, s4, v9
	s_mulk_i32 s1, 0x9520
	s_sub_i32 s1, s1, s0
	s_waitcnt vmcnt(1) lgkmcnt(0)
	v_mul_f64 v[4:5], v[12:13], v[2:3]
	v_fmac_f64_e32 v[4:5], v[10:11], v[0:1]
	v_mul_f64 v[0:1], v[12:13], v[0:1]
	v_fma_f64 v[0:1], v[10:11], v[2:3], -v[0:1]
	scratch_load_dwordx4 v[10:13], off, off offset:104 ; 16-byte Folded Reload
	v_mul_f64 v[6:7], v[0:1], s[2:3]
	ds_read_b128 v[0:3], v232 offset:1440
	v_mul_f64 v[4:5], v[4:5], s[2:3]
	global_store_dwordx4 v[8:9], v[4:7], off
	v_mad_u64_u32 v[8:9], s[6:7], s0, v230, v[8:9]
	v_add_u32_e32 v9, s1, v9
	s_waitcnt vmcnt(1) lgkmcnt(0)
	v_mul_f64 v[4:5], v[12:13], v[2:3]
	v_fmac_f64_e32 v[4:5], v[10:11], v[0:1]
	v_mul_f64 v[0:1], v[12:13], v[0:1]
	v_fma_f64 v[0:1], v[10:11], v[2:3], -v[0:1]
	scratch_load_dwordx4 v[10:13], off, off offset:120 ; 16-byte Folded Reload
	v_mul_f64 v[6:7], v[0:1], s[2:3]
	ds_read_b128 v[0:3], v232 offset:15840
	v_mul_f64 v[4:5], v[4:5], s[2:3]
	global_store_dwordx4 v[8:9], v[4:7], off
	v_mad_u64_u32 v[8:9], s[6:7], s0, v204, v[8:9]
	v_add_u32_e32 v9, s4, v9
	;; [unrolled: 12-line block ×24, first 2 shown]
	s_waitcnt vmcnt(1) lgkmcnt(0)
	v_mul_f64 v[4:5], v[12:13], v[2:3]
	v_fmac_f64_e32 v[4:5], v[10:11], v[0:1]
	v_mul_f64 v[0:1], v[12:13], v[0:1]
	v_fma_f64 v[0:1], v[10:11], v[2:3], -v[0:1]
	scratch_load_dwordx4 v[10:13], off, off offset:488 ; 16-byte Folded Reload
	v_mul_f64 v[6:7], v[0:1], s[2:3]
	ds_read_b128 v[0:3], v232 offset:12960
	v_mul_f64 v[4:5], v[4:5], s[2:3]
	global_store_dwordx4 v[8:9], v[4:7], off
	s_waitcnt vmcnt(1) lgkmcnt(0)
	s_nop 0
	v_mul_f64 v[4:5], v[12:13], v[2:3]
	v_fmac_f64_e32 v[4:5], v[10:11], v[0:1]
	v_mul_f64 v[0:1], v[12:13], v[0:1]
	scratch_load_dwordx4 v[12:15], off, off offset:504 ; 16-byte Folded Reload
	v_fma_f64 v[0:1], v[10:11], v[2:3], -v[0:1]
	v_mul_f64 v[6:7], v[0:1], s[2:3]
	ds_read_b128 v[0:3], v232 offset:27360
	v_mad_u64_u32 v[10:11], s[6:7], s0, v230, v[8:9]
	v_mul_f64 v[4:5], v[4:5], s[2:3]
	v_add_u32_e32 v11, s1, v11
	global_store_dwordx4 v[10:11], v[4:7], off
	s_waitcnt vmcnt(1) lgkmcnt(0)
	s_nop 0
	v_mul_f64 v[4:5], v[14:15], v[2:3]
	v_fmac_f64_e32 v[4:5], v[12:13], v[0:1]
	v_mul_f64 v[0:1], v[14:15], v[0:1]
	v_mul_f64 v[6:7], v[4:5], s[2:3]
	v_fma_f64 v[0:1], v[12:13], v[2:3], -v[0:1]
	v_mad_u64_u32 v[4:5], s[6:7], s0, v204, v[10:11]
	v_mul_f64 v[8:9], v[0:1], s[2:3]
	v_add_u32_e32 v5, s4, v5
	global_store_dwordx4 v[4:5], v[6:9], off
	scratch_load_dwordx4 v[8:11], off, off offset:56 ; 16-byte Folded Reload
	ds_read_b128 v[0:3], v232 offset:41760
	s_waitcnt vmcnt(0) lgkmcnt(0)
	v_mul_f64 v[6:7], v[10:11], v[2:3]
	v_fmac_f64_e32 v[6:7], v[8:9], v[0:1]
	v_mul_f64 v[0:1], v[10:11], v[0:1]
	v_fma_f64 v[0:1], v[8:9], v[2:3], -v[0:1]
	v_mul_f64 v[8:9], v[0:1], s[2:3]
	v_mad_u64_u32 v[0:1], s[0:1], s0, v204, v[4:5]
	v_mul_f64 v[6:7], v[6:7], s[2:3]
	v_add_u32_e32 v1, s4, v1
	global_store_dwordx4 v[0:1], v[6:9], off
.LBB0_2:
	s_endpgm
	.section	.rodata,"a",@progbits
	.p2align	6, 0x0
	.amdhsa_kernel bluestein_single_fwd_len2700_dim1_dp_op_CI_CI
		.amdhsa_group_segment_fixed_size 43200
		.amdhsa_private_segment_fixed_size 668
		.amdhsa_kernarg_size 104
		.amdhsa_user_sgpr_count 2
		.amdhsa_user_sgpr_dispatch_ptr 0
		.amdhsa_user_sgpr_queue_ptr 0
		.amdhsa_user_sgpr_kernarg_segment_ptr 1
		.amdhsa_user_sgpr_dispatch_id 0
		.amdhsa_user_sgpr_kernarg_preload_length 0
		.amdhsa_user_sgpr_kernarg_preload_offset 0
		.amdhsa_user_sgpr_private_segment_size 0
		.amdhsa_uses_dynamic_stack 0
		.amdhsa_enable_private_segment 1
		.amdhsa_system_sgpr_workgroup_id_x 1
		.amdhsa_system_sgpr_workgroup_id_y 0
		.amdhsa_system_sgpr_workgroup_id_z 0
		.amdhsa_system_sgpr_workgroup_info 0
		.amdhsa_system_vgpr_workitem_id 0
		.amdhsa_next_free_vgpr 512
		.amdhsa_next_free_sgpr 32
		.amdhsa_accum_offset 256
		.amdhsa_reserve_vcc 1
		.amdhsa_float_round_mode_32 0
		.amdhsa_float_round_mode_16_64 0
		.amdhsa_float_denorm_mode_32 3
		.amdhsa_float_denorm_mode_16_64 3
		.amdhsa_dx10_clamp 1
		.amdhsa_ieee_mode 1
		.amdhsa_fp16_overflow 0
		.amdhsa_tg_split 0
		.amdhsa_exception_fp_ieee_invalid_op 0
		.amdhsa_exception_fp_denorm_src 0
		.amdhsa_exception_fp_ieee_div_zero 0
		.amdhsa_exception_fp_ieee_overflow 0
		.amdhsa_exception_fp_ieee_underflow 0
		.amdhsa_exception_fp_ieee_inexact 0
		.amdhsa_exception_int_div_zero 0
	.end_amdhsa_kernel
	.text
.Lfunc_end0:
	.size	bluestein_single_fwd_len2700_dim1_dp_op_CI_CI, .Lfunc_end0-bluestein_single_fwd_len2700_dim1_dp_op_CI_CI
                                        ; -- End function
	.section	.AMDGPU.csdata,"",@progbits
; Kernel info:
; codeLenInByte = 42368
; NumSgprs: 38
; NumVgprs: 256
; NumAgprs: 256
; TotalNumVgprs: 512
; ScratchSize: 668
; MemoryBound: 0
; FloatMode: 240
; IeeeMode: 1
; LDSByteSize: 43200 bytes/workgroup (compile time only)
; SGPRBlocks: 4
; VGPRBlocks: 63
; NumSGPRsForWavesPerEU: 38
; NumVGPRsForWavesPerEU: 512
; AccumOffset: 256
; Occupancy: 1
; WaveLimiterHint : 1
; COMPUTE_PGM_RSRC2:SCRATCH_EN: 1
; COMPUTE_PGM_RSRC2:USER_SGPR: 2
; COMPUTE_PGM_RSRC2:TRAP_HANDLER: 0
; COMPUTE_PGM_RSRC2:TGID_X_EN: 1
; COMPUTE_PGM_RSRC2:TGID_Y_EN: 0
; COMPUTE_PGM_RSRC2:TGID_Z_EN: 0
; COMPUTE_PGM_RSRC2:TIDIG_COMP_CNT: 0
; COMPUTE_PGM_RSRC3_GFX90A:ACCUM_OFFSET: 63
; COMPUTE_PGM_RSRC3_GFX90A:TG_SPLIT: 0
	.text
	.p2alignl 6, 3212836864
	.fill 256, 4, 3212836864
	.type	__hip_cuid_1467d88ddf5bce2e,@object ; @__hip_cuid_1467d88ddf5bce2e
	.section	.bss,"aw",@nobits
	.globl	__hip_cuid_1467d88ddf5bce2e
__hip_cuid_1467d88ddf5bce2e:
	.byte	0                               ; 0x0
	.size	__hip_cuid_1467d88ddf5bce2e, 1

	.ident	"AMD clang version 19.0.0git (https://github.com/RadeonOpenCompute/llvm-project roc-6.4.0 25133 c7fe45cf4b819c5991fe208aaa96edf142730f1d)"
	.section	".note.GNU-stack","",@progbits
	.addrsig
	.addrsig_sym __hip_cuid_1467d88ddf5bce2e
	.amdgpu_metadata
---
amdhsa.kernels:
  - .agpr_count:     256
    .args:
      - .actual_access:  read_only
        .address_space:  global
        .offset:         0
        .size:           8
        .value_kind:     global_buffer
      - .actual_access:  read_only
        .address_space:  global
        .offset:         8
        .size:           8
        .value_kind:     global_buffer
      - .actual_access:  read_only
        .address_space:  global
        .offset:         16
        .size:           8
        .value_kind:     global_buffer
      - .actual_access:  read_only
        .address_space:  global
        .offset:         24
        .size:           8
        .value_kind:     global_buffer
      - .actual_access:  read_only
        .address_space:  global
        .offset:         32
        .size:           8
        .value_kind:     global_buffer
      - .offset:         40
        .size:           8
        .value_kind:     by_value
      - .address_space:  global
        .offset:         48
        .size:           8
        .value_kind:     global_buffer
      - .address_space:  global
        .offset:         56
        .size:           8
        .value_kind:     global_buffer
      - .address_space:  global
        .offset:         64
        .size:           8
        .value_kind:     global_buffer
      - .address_space:  global
        .offset:         72
        .size:           8
        .value_kind:     global_buffer
      - .offset:         80
        .size:           4
        .value_kind:     by_value
      - .address_space:  global
        .offset:         88
        .size:           8
        .value_kind:     global_buffer
      - .address_space:  global
        .offset:         96
        .size:           8
        .value_kind:     global_buffer
    .group_segment_fixed_size: 43200
    .kernarg_segment_align: 8
    .kernarg_segment_size: 104
    .language:       OpenCL C
    .language_version:
      - 2
      - 0
    .max_flat_workgroup_size: 90
    .name:           bluestein_single_fwd_len2700_dim1_dp_op_CI_CI
    .private_segment_fixed_size: 668
    .sgpr_count:     38
    .sgpr_spill_count: 0
    .symbol:         bluestein_single_fwd_len2700_dim1_dp_op_CI_CI.kd
    .uniform_work_group_size: 1
    .uses_dynamic_stack: false
    .vgpr_count:     512
    .vgpr_spill_count: 166
    .wavefront_size: 64
amdhsa.target:   amdgcn-amd-amdhsa--gfx950
amdhsa.version:
  - 1
  - 2
...

	.end_amdgpu_metadata
